;; amdgpu-corpus repo=ROCm/rocFFT kind=compiled arch=gfx1100 opt=O3
	.text
	.amdgcn_target "amdgcn-amd-amdhsa--gfx1100"
	.amdhsa_code_object_version 6
	.protected	fft_rtc_fwd_len882_factors_9_7_7_2_wgs_63_tpt_63_dp_op_CI_CI_unitstride_sbrr_R2C_dirReg ; -- Begin function fft_rtc_fwd_len882_factors_9_7_7_2_wgs_63_tpt_63_dp_op_CI_CI_unitstride_sbrr_R2C_dirReg
	.globl	fft_rtc_fwd_len882_factors_9_7_7_2_wgs_63_tpt_63_dp_op_CI_CI_unitstride_sbrr_R2C_dirReg
	.p2align	8
	.type	fft_rtc_fwd_len882_factors_9_7_7_2_wgs_63_tpt_63_dp_op_CI_CI_unitstride_sbrr_R2C_dirReg,@function
fft_rtc_fwd_len882_factors_9_7_7_2_wgs_63_tpt_63_dp_op_CI_CI_unitstride_sbrr_R2C_dirReg: ; @fft_rtc_fwd_len882_factors_9_7_7_2_wgs_63_tpt_63_dp_op_CI_CI_unitstride_sbrr_R2C_dirReg
; %bb.0:
	s_clause 0x2
	s_load_b128 s[8:11], s[0:1], 0x0
	s_load_b128 s[4:7], s[0:1], 0x58
	;; [unrolled: 1-line block ×3, first 2 shown]
	v_mul_u32_u24_e32 v1, 0x411, v0
	v_mov_b32_e32 v3, 0
	s_delay_alu instid0(VALU_DEP_2) | instskip(NEXT) | instid1(VALU_DEP_1)
	v_lshrrev_b32_e32 v1, 16, v1
	v_add_nc_u32_e32 v5, s15, v1
	v_mov_b32_e32 v1, 0
	v_mov_b32_e32 v2, 0
	;; [unrolled: 1-line block ×3, first 2 shown]
	s_waitcnt lgkmcnt(0)
	v_cmp_lt_u64_e64 s2, s[10:11], 2
	s_delay_alu instid0(VALU_DEP_1)
	s_and_b32 vcc_lo, exec_lo, s2
	s_cbranch_vccnz .LBB0_8
; %bb.1:
	s_load_b64 s[2:3], s[0:1], 0x10
	v_mov_b32_e32 v1, 0
	v_mov_b32_e32 v2, 0
	s_add_u32 s12, s18, 8
	s_addc_u32 s13, s19, 0
	s_add_u32 s14, s16, 8
	s_addc_u32 s15, s17, 0
	v_dual_mov_b32 v37, v2 :: v_dual_mov_b32 v36, v1
	s_mov_b64 s[22:23], 1
	s_waitcnt lgkmcnt(0)
	s_add_u32 s20, s2, 8
	s_addc_u32 s21, s3, 0
.LBB0_2:                                ; =>This Inner Loop Header: Depth=1
	s_load_b64 s[24:25], s[20:21], 0x0
                                        ; implicit-def: $vgpr40_vgpr41
	s_mov_b32 s2, exec_lo
	s_waitcnt lgkmcnt(0)
	v_or_b32_e32 v4, s25, v6
	s_delay_alu instid0(VALU_DEP_1)
	v_cmpx_ne_u64_e32 0, v[3:4]
	s_xor_b32 s3, exec_lo, s2
	s_cbranch_execz .LBB0_4
; %bb.3:                                ;   in Loop: Header=BB0_2 Depth=1
	v_cvt_f32_u32_e32 v4, s24
	v_cvt_f32_u32_e32 v7, s25
	s_sub_u32 s2, 0, s24
	s_subb_u32 s26, 0, s25
	s_delay_alu instid0(VALU_DEP_1) | instskip(NEXT) | instid1(VALU_DEP_1)
	v_fmac_f32_e32 v4, 0x4f800000, v7
	v_rcp_f32_e32 v4, v4
	s_waitcnt_depctr 0xfff
	v_mul_f32_e32 v4, 0x5f7ffffc, v4
	s_delay_alu instid0(VALU_DEP_1) | instskip(NEXT) | instid1(VALU_DEP_1)
	v_mul_f32_e32 v7, 0x2f800000, v4
	v_trunc_f32_e32 v7, v7
	s_delay_alu instid0(VALU_DEP_1) | instskip(SKIP_1) | instid1(VALU_DEP_2)
	v_fmac_f32_e32 v4, 0xcf800000, v7
	v_cvt_u32_f32_e32 v7, v7
	v_cvt_u32_f32_e32 v4, v4
	s_delay_alu instid0(VALU_DEP_2) | instskip(NEXT) | instid1(VALU_DEP_2)
	v_mul_lo_u32 v8, s2, v7
	v_mul_hi_u32 v9, s2, v4
	v_mul_lo_u32 v10, s26, v4
	s_delay_alu instid0(VALU_DEP_2) | instskip(SKIP_1) | instid1(VALU_DEP_2)
	v_add_nc_u32_e32 v8, v9, v8
	v_mul_lo_u32 v9, s2, v4
	v_add_nc_u32_e32 v8, v8, v10
	s_delay_alu instid0(VALU_DEP_2) | instskip(NEXT) | instid1(VALU_DEP_2)
	v_mul_hi_u32 v10, v4, v9
	v_mul_lo_u32 v11, v4, v8
	v_mul_hi_u32 v12, v4, v8
	v_mul_hi_u32 v13, v7, v9
	v_mul_lo_u32 v9, v7, v9
	v_mul_hi_u32 v14, v7, v8
	v_mul_lo_u32 v8, v7, v8
	v_add_co_u32 v10, vcc_lo, v10, v11
	v_add_co_ci_u32_e32 v11, vcc_lo, 0, v12, vcc_lo
	s_delay_alu instid0(VALU_DEP_2) | instskip(NEXT) | instid1(VALU_DEP_2)
	v_add_co_u32 v9, vcc_lo, v10, v9
	v_add_co_ci_u32_e32 v9, vcc_lo, v11, v13, vcc_lo
	v_add_co_ci_u32_e32 v10, vcc_lo, 0, v14, vcc_lo
	s_delay_alu instid0(VALU_DEP_2) | instskip(NEXT) | instid1(VALU_DEP_2)
	v_add_co_u32 v8, vcc_lo, v9, v8
	v_add_co_ci_u32_e32 v9, vcc_lo, 0, v10, vcc_lo
	s_delay_alu instid0(VALU_DEP_2) | instskip(NEXT) | instid1(VALU_DEP_2)
	v_add_co_u32 v4, vcc_lo, v4, v8
	v_add_co_ci_u32_e32 v7, vcc_lo, v7, v9, vcc_lo
	s_delay_alu instid0(VALU_DEP_2) | instskip(SKIP_1) | instid1(VALU_DEP_3)
	v_mul_hi_u32 v8, s2, v4
	v_mul_lo_u32 v10, s26, v4
	v_mul_lo_u32 v9, s2, v7
	s_delay_alu instid0(VALU_DEP_1) | instskip(SKIP_1) | instid1(VALU_DEP_2)
	v_add_nc_u32_e32 v8, v8, v9
	v_mul_lo_u32 v9, s2, v4
	v_add_nc_u32_e32 v8, v8, v10
	s_delay_alu instid0(VALU_DEP_2) | instskip(NEXT) | instid1(VALU_DEP_2)
	v_mul_hi_u32 v10, v4, v9
	v_mul_lo_u32 v11, v4, v8
	v_mul_hi_u32 v12, v4, v8
	v_mul_hi_u32 v13, v7, v9
	v_mul_lo_u32 v9, v7, v9
	v_mul_hi_u32 v14, v7, v8
	v_mul_lo_u32 v8, v7, v8
	v_add_co_u32 v10, vcc_lo, v10, v11
	v_add_co_ci_u32_e32 v11, vcc_lo, 0, v12, vcc_lo
	s_delay_alu instid0(VALU_DEP_2) | instskip(NEXT) | instid1(VALU_DEP_2)
	v_add_co_u32 v9, vcc_lo, v10, v9
	v_add_co_ci_u32_e32 v9, vcc_lo, v11, v13, vcc_lo
	v_add_co_ci_u32_e32 v10, vcc_lo, 0, v14, vcc_lo
	s_delay_alu instid0(VALU_DEP_2) | instskip(NEXT) | instid1(VALU_DEP_2)
	v_add_co_u32 v8, vcc_lo, v9, v8
	v_add_co_ci_u32_e32 v9, vcc_lo, 0, v10, vcc_lo
	s_delay_alu instid0(VALU_DEP_2) | instskip(NEXT) | instid1(VALU_DEP_2)
	v_add_co_u32 v4, vcc_lo, v4, v8
	v_add_co_ci_u32_e32 v13, vcc_lo, v7, v9, vcc_lo
	s_delay_alu instid0(VALU_DEP_2) | instskip(SKIP_1) | instid1(VALU_DEP_3)
	v_mul_hi_u32 v14, v5, v4
	v_mad_u64_u32 v[9:10], null, v6, v4, 0
	v_mad_u64_u32 v[7:8], null, v5, v13, 0
	;; [unrolled: 1-line block ×3, first 2 shown]
	s_delay_alu instid0(VALU_DEP_2) | instskip(NEXT) | instid1(VALU_DEP_3)
	v_add_co_u32 v4, vcc_lo, v14, v7
	v_add_co_ci_u32_e32 v7, vcc_lo, 0, v8, vcc_lo
	s_delay_alu instid0(VALU_DEP_2) | instskip(NEXT) | instid1(VALU_DEP_2)
	v_add_co_u32 v4, vcc_lo, v4, v9
	v_add_co_ci_u32_e32 v4, vcc_lo, v7, v10, vcc_lo
	v_add_co_ci_u32_e32 v7, vcc_lo, 0, v12, vcc_lo
	s_delay_alu instid0(VALU_DEP_2) | instskip(NEXT) | instid1(VALU_DEP_2)
	v_add_co_u32 v4, vcc_lo, v4, v11
	v_add_co_ci_u32_e32 v9, vcc_lo, 0, v7, vcc_lo
	s_delay_alu instid0(VALU_DEP_2) | instskip(SKIP_1) | instid1(VALU_DEP_3)
	v_mul_lo_u32 v10, s25, v4
	v_mad_u64_u32 v[7:8], null, s24, v4, 0
	v_mul_lo_u32 v11, s24, v9
	s_delay_alu instid0(VALU_DEP_2) | instskip(NEXT) | instid1(VALU_DEP_2)
	v_sub_co_u32 v7, vcc_lo, v5, v7
	v_add3_u32 v8, v8, v11, v10
	s_delay_alu instid0(VALU_DEP_1) | instskip(NEXT) | instid1(VALU_DEP_1)
	v_sub_nc_u32_e32 v10, v6, v8
	v_subrev_co_ci_u32_e64 v10, s2, s25, v10, vcc_lo
	v_add_co_u32 v11, s2, v4, 2
	s_delay_alu instid0(VALU_DEP_1) | instskip(SKIP_3) | instid1(VALU_DEP_3)
	v_add_co_ci_u32_e64 v12, s2, 0, v9, s2
	v_sub_co_u32 v13, s2, v7, s24
	v_sub_co_ci_u32_e32 v8, vcc_lo, v6, v8, vcc_lo
	v_subrev_co_ci_u32_e64 v10, s2, 0, v10, s2
	v_cmp_le_u32_e32 vcc_lo, s24, v13
	s_delay_alu instid0(VALU_DEP_3) | instskip(SKIP_1) | instid1(VALU_DEP_4)
	v_cmp_eq_u32_e64 s2, s25, v8
	v_cndmask_b32_e64 v13, 0, -1, vcc_lo
	v_cmp_le_u32_e32 vcc_lo, s25, v10
	v_cndmask_b32_e64 v14, 0, -1, vcc_lo
	v_cmp_le_u32_e32 vcc_lo, s24, v7
	;; [unrolled: 2-line block ×3, first 2 shown]
	v_cndmask_b32_e64 v15, 0, -1, vcc_lo
	v_cmp_eq_u32_e32 vcc_lo, s25, v10
	s_delay_alu instid0(VALU_DEP_2) | instskip(SKIP_3) | instid1(VALU_DEP_3)
	v_cndmask_b32_e64 v7, v15, v7, s2
	v_cndmask_b32_e32 v10, v14, v13, vcc_lo
	v_add_co_u32 v13, vcc_lo, v4, 1
	v_add_co_ci_u32_e32 v14, vcc_lo, 0, v9, vcc_lo
	v_cmp_ne_u32_e32 vcc_lo, 0, v10
	s_delay_alu instid0(VALU_DEP_2) | instskip(NEXT) | instid1(VALU_DEP_4)
	v_cndmask_b32_e32 v8, v14, v12, vcc_lo
	v_cndmask_b32_e32 v10, v13, v11, vcc_lo
	v_cmp_ne_u32_e32 vcc_lo, 0, v7
	s_delay_alu instid0(VALU_DEP_2)
	v_dual_cndmask_b32 v41, v9, v8 :: v_dual_cndmask_b32 v40, v4, v10
.LBB0_4:                                ;   in Loop: Header=BB0_2 Depth=1
	s_and_not1_saveexec_b32 s2, s3
	s_cbranch_execz .LBB0_6
; %bb.5:                                ;   in Loop: Header=BB0_2 Depth=1
	v_cvt_f32_u32_e32 v4, s24
	s_sub_i32 s3, 0, s24
	v_mov_b32_e32 v41, v3
	s_delay_alu instid0(VALU_DEP_2) | instskip(SKIP_2) | instid1(VALU_DEP_1)
	v_rcp_iflag_f32_e32 v4, v4
	s_waitcnt_depctr 0xfff
	v_mul_f32_e32 v4, 0x4f7ffffe, v4
	v_cvt_u32_f32_e32 v4, v4
	s_delay_alu instid0(VALU_DEP_1) | instskip(NEXT) | instid1(VALU_DEP_1)
	v_mul_lo_u32 v7, s3, v4
	v_mul_hi_u32 v7, v4, v7
	s_delay_alu instid0(VALU_DEP_1) | instskip(NEXT) | instid1(VALU_DEP_1)
	v_add_nc_u32_e32 v4, v4, v7
	v_mul_hi_u32 v4, v5, v4
	s_delay_alu instid0(VALU_DEP_1) | instskip(SKIP_1) | instid1(VALU_DEP_2)
	v_mul_lo_u32 v7, v4, s24
	v_add_nc_u32_e32 v8, 1, v4
	v_sub_nc_u32_e32 v7, v5, v7
	s_delay_alu instid0(VALU_DEP_1) | instskip(SKIP_1) | instid1(VALU_DEP_2)
	v_subrev_nc_u32_e32 v9, s24, v7
	v_cmp_le_u32_e32 vcc_lo, s24, v7
	v_dual_cndmask_b32 v7, v7, v9 :: v_dual_cndmask_b32 v4, v4, v8
	s_delay_alu instid0(VALU_DEP_1) | instskip(NEXT) | instid1(VALU_DEP_2)
	v_cmp_le_u32_e32 vcc_lo, s24, v7
	v_add_nc_u32_e32 v8, 1, v4
	s_delay_alu instid0(VALU_DEP_1)
	v_cndmask_b32_e32 v40, v4, v8, vcc_lo
.LBB0_6:                                ;   in Loop: Header=BB0_2 Depth=1
	s_or_b32 exec_lo, exec_lo, s2
	s_delay_alu instid0(VALU_DEP_1) | instskip(NEXT) | instid1(VALU_DEP_2)
	v_mul_lo_u32 v4, v41, s24
	v_mul_lo_u32 v9, v40, s25
	s_load_b64 s[2:3], s[14:15], 0x0
	v_mad_u64_u32 v[7:8], null, v40, s24, 0
	s_load_b64 s[24:25], s[12:13], 0x0
	s_add_u32 s22, s22, 1
	s_addc_u32 s23, s23, 0
	s_add_u32 s12, s12, 8
	s_addc_u32 s13, s13, 0
	s_add_u32 s14, s14, 8
	s_delay_alu instid0(VALU_DEP_1) | instskip(SKIP_3) | instid1(VALU_DEP_2)
	v_add3_u32 v4, v8, v9, v4
	v_sub_co_u32 v8, vcc_lo, v5, v7
	s_addc_u32 s15, s15, 0
	s_add_u32 s20, s20, 8
	v_sub_co_ci_u32_e32 v6, vcc_lo, v6, v4, vcc_lo
	s_addc_u32 s21, s21, 0
	s_waitcnt lgkmcnt(0)
	s_delay_alu instid0(VALU_DEP_1)
	v_mul_lo_u32 v9, s2, v6
	v_mul_lo_u32 v10, s3, v8
	v_mad_u64_u32 v[4:5], null, s2, v8, v[1:2]
	v_mul_lo_u32 v11, s24, v6
	v_mul_lo_u32 v12, s25, v8
	v_mad_u64_u32 v[6:7], null, s24, v8, v[36:37]
	v_cmp_ge_u64_e64 s2, s[22:23], s[10:11]
	v_add3_u32 v2, v10, v5, v9
	s_delay_alu instid0(VALU_DEP_3) | instskip(NEXT) | instid1(VALU_DEP_4)
	v_dual_mov_b32 v1, v4 :: v_dual_mov_b32 v36, v6
	v_add3_u32 v37, v12, v7, v11
	s_delay_alu instid0(VALU_DEP_4)
	s_and_b32 vcc_lo, exec_lo, s2
	s_cbranch_vccnz .LBB0_9
; %bb.7:                                ;   in Loop: Header=BB0_2 Depth=1
	v_dual_mov_b32 v5, v40 :: v_dual_mov_b32 v6, v41
	s_branch .LBB0_2
.LBB0_8:
	v_dual_mov_b32 v37, v2 :: v_dual_mov_b32 v36, v1
	v_dual_mov_b32 v41, v6 :: v_dual_mov_b32 v40, v5
.LBB0_9:
	s_load_b64 s[0:1], s[0:1], 0x28
	v_mul_hi_u32 v3, 0x4104105, v0
	s_lshl_b64 s[10:11], s[10:11], 3
                                        ; implicit-def: $vgpr38
                                        ; implicit-def: $vgpr42
	s_delay_alu instid0(SALU_CYCLE_1) | instskip(SKIP_4) | instid1(VALU_DEP_1)
	s_add_u32 s2, s18, s10
	s_addc_u32 s3, s19, s11
	s_waitcnt lgkmcnt(0)
	v_cmp_gt_u64_e32 vcc_lo, s[0:1], v[40:41]
	v_cmp_le_u64_e64 s0, s[0:1], v[40:41]
	s_and_saveexec_b32 s1, s0
	s_delay_alu instid0(SALU_CYCLE_1)
	s_xor_b32 s0, exec_lo, s1
; %bb.10:
	v_mul_u32_u24_e32 v1, 63, v3
                                        ; implicit-def: $vgpr3
	s_delay_alu instid0(VALU_DEP_1) | instskip(NEXT) | instid1(VALU_DEP_1)
	v_sub_nc_u32_e32 v38, v0, v1
                                        ; implicit-def: $vgpr0
                                        ; implicit-def: $vgpr1_vgpr2
	v_add_nc_u32_e32 v42, 63, v38
; %bb.11:
	s_and_not1_saveexec_b32 s1, s0
	s_cbranch_execz .LBB0_13
; %bb.12:
	s_add_u32 s10, s16, s10
	s_addc_u32 s11, s17, s11
	v_lshlrev_b64 v[1:2], 4, v[1:2]
	s_load_b64 s[10:11], s[10:11], 0x0
	s_waitcnt lgkmcnt(0)
	v_mul_lo_u32 v6, s11, v40
	v_mul_lo_u32 v7, s10, v41
	v_mad_u64_u32 v[4:5], null, s10, v40, 0
	s_delay_alu instid0(VALU_DEP_1) | instskip(SKIP_1) | instid1(VALU_DEP_2)
	v_add3_u32 v5, v5, v7, v6
	v_mul_u32_u24_e32 v6, 63, v3
	v_lshlrev_b64 v[3:4], 4, v[4:5]
	s_delay_alu instid0(VALU_DEP_2) | instskip(NEXT) | instid1(VALU_DEP_1)
	v_sub_nc_u32_e32 v38, v0, v6
	v_lshlrev_b32_e32 v39, 4, v38
	s_delay_alu instid0(VALU_DEP_3) | instskip(NEXT) | instid1(VALU_DEP_1)
	v_add_co_u32 v0, s0, s4, v3
	v_add_co_ci_u32_e64 v3, s0, s5, v4, s0
	v_add_nc_u32_e32 v42, 63, v38
	s_delay_alu instid0(VALU_DEP_3) | instskip(NEXT) | instid1(VALU_DEP_1)
	v_add_co_u32 v0, s0, v0, v1
	v_add_co_ci_u32_e64 v1, s0, v3, v2, s0
	s_delay_alu instid0(VALU_DEP_2) | instskip(NEXT) | instid1(VALU_DEP_1)
	v_add_co_u32 v16, s0, v0, v39
	v_add_co_ci_u32_e64 v17, s0, 0, v1, s0
	s_clause 0x3
	global_load_b128 v[0:3], v[16:17], off
	global_load_b128 v[4:7], v[16:17], off offset:1008
	global_load_b128 v[8:11], v[16:17], off offset:2016
	;; [unrolled: 1-line block ×3, first 2 shown]
	v_add_co_u32 v32, s0, 0x1000, v16
	s_delay_alu instid0(VALU_DEP_1) | instskip(SKIP_1) | instid1(VALU_DEP_1)
	v_add_co_ci_u32_e64 v33, s0, 0, v17, s0
	v_add_co_u32 v55, s0, 0x2000, v16
	v_add_co_ci_u32_e64 v56, s0, 0, v17, s0
	v_add_co_u32 v59, s0, 0x3000, v16
	s_delay_alu instid0(VALU_DEP_1)
	v_add_co_ci_u32_e64 v60, s0, 0, v17, s0
	s_clause 0x9
	global_load_b128 v[16:19], v[16:17], off offset:4032
	global_load_b128 v[20:23], v[32:33], off offset:944
	;; [unrolled: 1-line block ×10, first 2 shown]
	v_add_nc_u32_e32 v39, 0, v39
	s_waitcnt vmcnt(13)
	ds_store_b128 v39, v[0:3]
	s_waitcnt vmcnt(12)
	ds_store_b128 v39, v[4:7] offset:1008
	s_waitcnt vmcnt(11)
	ds_store_b128 v39, v[8:11] offset:2016
	s_waitcnt vmcnt(10)
	ds_store_b128 v39, v[12:15] offset:3024
	s_waitcnt vmcnt(9)
	ds_store_b128 v39, v[16:19] offset:4032
	s_waitcnt vmcnt(8)
	ds_store_b128 v39, v[20:23] offset:5040
	s_waitcnt vmcnt(7)
	ds_store_b128 v39, v[24:27] offset:6048
	s_waitcnt vmcnt(6)
	ds_store_b128 v39, v[28:31] offset:7056
	s_waitcnt vmcnt(5)
	ds_store_b128 v39, v[32:35] offset:8064
	s_waitcnt vmcnt(4)
	ds_store_b128 v39, v[43:46] offset:9072
	s_waitcnt vmcnt(3)
	ds_store_b128 v39, v[47:50] offset:10080
	s_waitcnt vmcnt(2)
	ds_store_b128 v39, v[51:54] offset:11088
	s_waitcnt vmcnt(1)
	ds_store_b128 v39, v[55:58] offset:12096
	s_waitcnt vmcnt(0)
	ds_store_b128 v39, v[59:62] offset:13104
.LBB0_13:
	s_or_b32 exec_lo, exec_lo, s1
	v_lshl_add_u32 v44, v38, 4, 0
	s_load_b64 s[2:3], s[2:3], 0x0
	s_waitcnt lgkmcnt(0)
	s_barrier
	buffer_gl0_inv
	ds_load_b128 v[4:7], v44 offset:12544
	ds_load_b128 v[45:48], v44 offset:7840
	;; [unrolled: 1-line block ×12, first 2 shown]
	ds_load_b128 v[57:60], v44
	s_mov_b32 s18, 0x523c161c
	s_mov_b32 s12, 0x8c811c17
	s_mov_b32 s16, 0xa2cf5039
	s_mov_b32 s19, 0x3fe491b7
	s_mov_b32 s15, 0xbfe491b7
	s_mov_b32 s13, 0x3fef838b
	s_mov_b32 s17, 0x3fe8836f
	s_mov_b32 s14, s18
	s_mov_b32 s20, 0x7e0b738b
	s_mov_b32 s21, 0x3fc63a1a
	s_waitcnt lgkmcnt(10)
	v_add_f64 v[65:66], v[12:13], -v[4:5]
	s_waitcnt lgkmcnt(9)
	v_add_f64 v[67:68], v[49:50], -v[45:46]
	v_add_f64 v[69:70], v[14:15], -v[6:7]
	;; [unrolled: 1-line block ×3, first 2 shown]
	v_add_f64 v[73:74], v[12:13], v[4:5]
	s_waitcnt lgkmcnt(7)
	v_add_f64 v[75:76], v[16:17], v[53:54]
	v_add_f64 v[77:78], v[49:50], v[45:46]
	;; [unrolled: 1-line block ×5, first 2 shown]
	ds_load_b128 v[4:7], v44 offset:1008
	v_add_f64 v[85:86], v[16:17], -v[53:54]
	v_add_f64 v[93:94], v[18:19], -v[55:56]
	ds_load_b128 v[53:56], v44 offset:9408
	ds_load_b128 v[61:64], v44 offset:4704
	s_mov_b32 s4, 0xe8584cab
	s_mov_b32 s5, 0x3febb67a
	;; [unrolled: 1-line block ×8, first 2 shown]
	ds_load_b128 v[12:15], v44 offset:5712
	ds_load_b128 v[16:19], v44 offset:10416
	s_mov_b32 s1, exec_lo
	s_waitcnt lgkmcnt(0)
	s_barrier
	buffer_gl0_inv
	v_add_f64 v[113:114], v[61:62], v[53:54]
	v_add_f64 v[115:116], v[63:64], v[55:56]
	v_add_f64 v[53:54], v[61:62], -v[53:54]
	v_add_f64 v[55:56], v[63:64], -v[55:56]
	v_mul_f64 v[87:88], v[65:66], s[18:19]
	v_mul_f64 v[89:90], v[67:68], s[14:15]
	;; [unrolled: 1-line block ×6, first 2 shown]
	v_fma_f64 v[101:102], v[73:74], s[16:17], v[57:58]
	v_fma_f64 v[103:104], v[75:76], s[16:17], v[57:58]
	;; [unrolled: 1-line block ×6, first 2 shown]
	v_add_f64 v[117:118], v[57:58], v[113:114]
	v_add_f64 v[119:120], v[59:60], v[115:116]
	v_fma_f64 v[61:62], v[85:86], s[12:13], v[87:88]
	v_fma_f64 v[87:88], v[65:66], s[12:13], v[89:90]
	v_fma_f64 v[89:90], v[85:86], s[14:15], -v[91:92]
	v_fma_f64 v[63:64], v[93:94], s[12:13], v[95:96]
	v_fma_f64 v[91:92], v[69:70], s[12:13], v[97:98]
	v_fma_f64 v[95:96], v[93:94], s[14:15], -v[99:100]
	v_fma_f64 v[97:98], v[75:76], s[20:21], v[101:102]
	v_fma_f64 v[99:100], v[77:78], s[20:21], v[103:104]
	;; [unrolled: 1-line block ×3, first 2 shown]
	v_add_f64 v[103:104], v[75:76], v[73:74]
	v_fma_f64 v[105:106], v[81:82], s[20:21], v[107:108]
	v_fma_f64 v[107:108], v[83:84], s[20:21], v[109:110]
	v_fma_f64 v[109:110], v[79:80], s[20:21], v[111:112]
	v_add_f64 v[111:112], v[79:80], v[83:84]
	v_fma_f64 v[61:62], v[53:54], s[4:5], v[61:62]
	v_fma_f64 v[87:88], v[53:54], s[10:11], v[87:88]
	;; [unrolled: 1-line block ×6, first 2 shown]
	v_fma_f64 v[97:98], v[113:114], -0.5, v[97:98]
	v_fma_f64 v[99:100], v[113:114], -0.5, v[99:100]
	;; [unrolled: 1-line block ×3, first 2 shown]
	v_add_f64 v[113:114], v[113:114], v[103:104]
	v_fma_f64 v[105:106], v[115:116], -0.5, v[105:106]
	v_fma_f64 v[107:108], v[115:116], -0.5, v[107:108]
	;; [unrolled: 1-line block ×3, first 2 shown]
	v_add_f64 v[115:116], v[115:116], v[111:112]
	v_add_f64 v[95:96], v[71:72], v[69:70]
	;; [unrolled: 1-line block ×5, first 2 shown]
	v_fma_f64 v[91:92], v[93:94], s[24:25], v[91:92]
	v_fma_f64 v[77:78], v[77:78], s[22:23], v[97:98]
	;; [unrolled: 1-line block ×3, first 2 shown]
	v_add_f64 v[49:50], v[49:50], v[113:114]
	v_fma_f64 v[113:114], v[69:70], s[24:25], v[55:56]
	v_fma_f64 v[55:56], v[83:84], s[22:23], v[105:106]
	;; [unrolled: 1-line block ×3, first 2 shown]
	v_add_f64 v[51:52], v[51:52], v[115:116]
	v_add_f64 v[95:96], v[95:96], -v[93:94]
	v_fma_f64 v[93:94], v[65:66], s[24:25], v[53:54]
	v_fma_f64 v[53:54], v[73:74], s[22:23], v[99:100]
	v_add_f64 v[89:90], v[89:90], -v[85:86]
	v_fma_f64 v[103:104], v[103:104], -0.5, v[117:118]
	v_fma_f64 v[111:112], v[111:112], -0.5, v[119:120]
	v_fma_f64 v[85:86], v[85:86], s[24:25], v[87:88]
	v_fma_f64 v[65:66], v[75:76], s[22:23], v[101:102]
	;; [unrolled: 1-line block ×4, first 2 shown]
	v_add_f64 v[45:46], v[45:46], v[49:50]
	v_add_f64 v[75:76], v[47:48], v[51:52]
	v_mul_f64 v[73:74], v[95:96], s[4:5]
	v_add_f64 v[63:64], v[55:56], -v[93:94]
	v_add_f64 v[61:62], v[113:114], v[53:54]
	v_mul_f64 v[71:72], v[89:90], s[4:5]
	v_fma_f64 v[47:48], v[95:96], s[4:5], v[103:104]
	v_fma_f64 v[49:50], v[89:90], s[10:11], v[111:112]
	v_add_f64 v[67:68], v[67:68], -v[85:86]
	v_add_f64 v[65:66], v[65:66], v[91:92]
	v_add_f64 v[51:52], v[87:88], v[77:78]
	v_add_f64 v[53:54], v[69:70], -v[97:98]
	v_add_f64 v[55:56], v[57:58], v[45:46]
	v_lshlrev_b32_e32 v46, 7, v38
	v_add_f64 v[57:58], v[59:60], v[75:76]
	v_fma_f64 v[79:80], v[93:94], 2.0, v[63:64]
	v_fma_f64 v[77:78], v[113:114], -2.0, v[61:62]
	s_delay_alu instid0(VALU_DEP_4)
	v_add_nc_u32_e32 v45, v44, v46
	v_fma_f64 v[69:70], v[73:74], -2.0, v[47:48]
	v_fma_f64 v[71:72], v[71:72], 2.0, v[49:50]
	v_fma_f64 v[83:84], v[85:86], 2.0, v[67:68]
	v_fma_f64 v[81:82], v[91:92], -2.0, v[65:66]
	v_fma_f64 v[73:74], v[87:88], -2.0, v[51:52]
	v_fma_f64 v[75:76], v[97:98], 2.0, v[53:54]
	ds_store_b128 v45, v[55:58]
	ds_store_b128 v45, v[51:54] offset:16
	ds_store_b128 v45, v[47:50] offset:48
	;; [unrolled: 1-line block ×8, first 2 shown]
	v_cmpx_gt_u32_e32 35, v38
	s_cbranch_execz .LBB0_15
; %bb.14:
	v_add_f64 v[47:48], v[8:9], -v[0:1]
	v_add_f64 v[49:50], v[30:31], v[34:35]
	v_add_f64 v[51:52], v[10:11], -v[2:3]
	v_add_f64 v[53:54], v[28:29], v[32:33]
	v_add_f64 v[55:56], v[10:11], v[2:3]
	;; [unrolled: 1-line block ×3, first 2 shown]
	v_add_f64 v[59:60], v[20:21], -v[24:25]
	v_add_f64 v[61:62], v[22:23], v[26:27]
	v_add_f64 v[22:23], v[22:23], -v[26:27]
	v_add_f64 v[20:21], v[20:21], v[24:25]
	v_add_f64 v[24:25], v[28:29], -v[32:33]
	v_add_f64 v[26:27], v[30:31], -v[34:35]
	v_add_f64 v[79:80], v[14:15], v[18:19]
	v_add_f64 v[81:82], v[12:13], v[16:17]
	v_add_f64 v[12:13], v[12:13], -v[16:17]
	v_add_f64 v[14:15], v[14:15], -v[18:19]
	v_mad_i32_i24 v39, 0x90, v42, 0
	v_mul_f64 v[28:29], v[47:48], s[12:13]
	v_fma_f64 v[30:31], v[49:50], s[16:17], v[6:7]
	v_mul_f64 v[32:33], v[51:52], s[12:13]
	v_fma_f64 v[34:35], v[53:54], s[16:17], v[4:5]
	;; [unrolled: 2-line block ×6, first 2 shown]
	v_add_f64 v[83:84], v[49:50], v[61:62]
	v_add_f64 v[85:86], v[53:54], v[20:21]
	v_add_f64 v[87:88], v[51:52], v[22:23]
	v_add_f64 v[89:90], v[4:5], v[81:82]
	v_fma_f64 v[16:17], v[24:25], s[14:15], -v[28:29]
	v_fma_f64 v[18:19], v[55:56], s[20:21], v[30:31]
	v_fma_f64 v[28:29], v[26:27], s[14:15], -v[32:33]
	v_fma_f64 v[30:31], v[57:58], s[20:21], v[34:35]
	v_fma_f64 v[32:33], v[59:60], s[12:13], v[63:64]
	;; [unrolled: 1-line block ×9, first 2 shown]
	v_add_f64 v[91:92], v[79:80], v[83:84]
	v_add_f64 v[93:94], v[81:82], v[85:86]
	;; [unrolled: 1-line block ×6, first 2 shown]
	v_fma_f64 v[16:17], v[12:13], s[4:5], v[16:17]
	v_fma_f64 v[18:19], v[79:80], -0.5, v[18:19]
	v_fma_f64 v[28:29], v[14:15], s[4:5], v[28:29]
	v_fma_f64 v[30:31], v[81:82], -0.5, v[30:31]
	;; [unrolled: 2-line block ×6, first 2 shown]
	v_add_f64 v[10:11], v[10:11], v[91:92]
	v_add_f64 v[8:9], v[8:9], v[93:94]
	v_add_f64 v[71:72], v[75:76], -v[24:25]
	v_add_f64 v[73:74], v[87:88], -v[26:27]
	v_fma_f64 v[75:76], v[83:84], -0.5, v[77:78]
	v_fma_f64 v[77:78], v[85:86], -0.5, v[89:90]
	v_fma_f64 v[59:60], v[59:60], s[24:25], v[16:17]
	v_fma_f64 v[16:17], v[61:62], s[22:23], v[18:19]
	;; [unrolled: 1-line block ×12, first 2 shown]
	v_add_f64 v[53:54], v[2:3], v[10:11]
	v_add_f64 v[55:56], v[0:1], v[8:9]
	v_mul_f64 v[49:50], v[71:72], s[4:5]
	v_mul_f64 v[51:52], v[73:74], s[4:5]
	v_fma_f64 v[2:3], v[71:72], s[10:11], v[75:76]
	v_fma_f64 v[0:1], v[73:74], s[4:5], v[77:78]
	v_add_f64 v[10:11], v[16:17], -v[59:60]
	v_add_f64 v[8:9], v[28:29], v[18:19]
	v_add_f64 v[14:15], v[20:21], -v[30:31]
	v_add_f64 v[12:13], v[22:23], v[32:33]
	;; [unrolled: 2-line block ×3, first 2 shown]
	v_add_f64 v[6:7], v[6:7], v[53:54]
	v_add_f64 v[4:5], v[4:5], v[55:56]
	v_fma_f64 v[22:23], v[49:50], 2.0, v[2:3]
	v_fma_f64 v[20:21], v[51:52], -2.0, v[0:1]
	v_fma_f64 v[26:27], v[59:60], 2.0, v[10:11]
	v_fma_f64 v[24:25], v[28:29], -2.0, v[8:9]
	;; [unrolled: 2-line block ×4, first 2 shown]
	ds_store_b128 v39, v[4:7]
	ds_store_b128 v39, v[16:19] offset:16
	ds_store_b128 v39, v[12:15] offset:32
	;; [unrolled: 1-line block ×8, first 2 shown]
.LBB0_15:
	s_or_b32 exec_lo, exec_lo, s1
	v_dual_mov_b32 v39, 0 :: v_dual_and_b32 v0, 0xff, v38
	v_and_b32_e32 v1, 0xff, v42
	s_waitcnt lgkmcnt(0)
	s_barrier
	s_delay_alu instid0(VALU_DEP_2)
	v_mul_lo_u16 v0, v0, 57
	buffer_gl0_inv
	v_mul_lo_u16 v1, v1, 57
	v_sub_nc_u32_e32 v12, v45, v46
	v_lshl_add_u32 v16, v42, 4, 0
	v_lshrrev_b16 v11, 9, v0
	s_mov_b32 s14, 0x37e14327
	v_lshrrev_b16 v10, 9, v1
	s_mov_b32 s10, 0x36b3c0b5
	s_mov_b32 s16, 0xe976ee23
	v_mul_lo_u16 v0, v11, 9
	s_mov_b32 s15, 0x3fe948f6
	v_mul_lo_u16 v1, v10, 9
	s_mov_b32 s11, 0x3fac98ee
	s_mov_b32 s17, 0xbfe11646
	v_sub_nc_u16 v0, v38, v0
	s_mov_b32 s0, 0x429ad128
	v_sub_nc_u16 v1, v42, v1
	s_mov_b32 s1, 0x3febfeb5
	s_mov_b32 s4, 0xaaaaaaaa
	v_dual_mov_b32 v43, v39 :: v_dual_and_b32 v8, 0xff, v0
	s_delay_alu instid0(VALU_DEP_2) | instskip(SKIP_2) | instid1(VALU_DEP_2)
	v_and_b32_e32 v9, 0xff, v1
	s_mov_b32 s12, 0x5476071b
	s_mov_b32 s22, 0xb247c609
	v_mul_u32_u24_e32 v0, 6, v8
	s_mov_b32 s5, 0xbff2aaaa
	v_mul_u32_u24_e32 v1, 6, v9
	s_mov_b32 s13, 0x3fe77f67
	s_mov_b32 s23, 0x3fd5d0dc
	v_lshlrev_b32_e32 v0, 4, v0
	s_mov_b32 s19, 0xbfe77f67
	v_lshlrev_b32_e32 v1, 4, v1
	s_mov_b32 s21, 0xbfd5d0dc
	s_mov_b32 s18, s12
	s_clause 0xb
	global_load_b128 v[4:7], v0, s[8:9]
	global_load_b128 v[17:20], v0, s[8:9] offset:16
	global_load_b128 v[21:24], v0, s[8:9] offset:80
	;; [unrolled: 1-line block ×3, first 2 shown]
	global_load_b128 v[29:32], v1, s[8:9]
	global_load_b128 v[47:50], v1, s[8:9] offset:16
	global_load_b128 v[51:54], v1, s[8:9] offset:80
	global_load_b128 v[55:58], v1, s[8:9] offset:64
	global_load_b128 v[59:62], v0, s[8:9] offset:32
	global_load_b128 v[63:66], v0, s[8:9] offset:48
	global_load_b128 v[67:70], v1, s[8:9] offset:32
	global_load_b128 v[71:74], v1, s[8:9] offset:48
	ds_load_b128 v[75:78], v12 offset:2016
	ds_load_b128 v[79:82], v12 offset:4032
	;; [unrolled: 1-line block ×3, first 2 shown]
	ds_load_b128 v[0:3], v16
	ds_load_b128 v[87:90], v44 offset:10080
	ds_load_b128 v[91:94], v44 offset:3024
	;; [unrolled: 1-line block ×7, first 2 shown]
	ds_load_b128 v[115:118], v44
	s_mov_b32 s20, s22
	s_mov_b32 s24, 0x37c3f68c
	;; [unrolled: 1-line block ×3, first 2 shown]
	v_and_b32_e32 v11, 0xffff, v11
	v_and_b32_e32 v10, 0xffff, v10
	v_lshlrev_b32_e32 v8, 4, v8
	v_lshlrev_b32_e32 v9, 4, v9
	s_delay_alu instid0(VALU_DEP_4) | instskip(NEXT) | instid1(VALU_DEP_4)
	v_mul_u32_u24_e32 v11, 0x3f0, v11
	v_mul_u32_u24_e32 v10, 0x3f0, v10
	s_delay_alu instid0(VALU_DEP_2) | instskip(NEXT) | instid1(VALU_DEP_2)
	v_add3_u32 v8, 0, v11, v8
	v_add3_u32 v9, 0, v10, v9
	s_waitcnt vmcnt(8) lgkmcnt(7)
	v_mul_f64 v[123:124], v[89:90], v[27:28]
	v_mul_f64 v[27:28], v[87:88], v[27:28]
	s_waitcnt vmcnt(7) lgkmcnt(6)
	v_mul_f64 v[125:126], v[93:94], v[31:32]
	v_mul_f64 v[127:128], v[91:92], v[31:32]
	ds_load_b128 v[31:34], v44 offset:8064
	v_mul_f64 v[13:14], v[77:78], v[6:7]
	v_mul_f64 v[6:7], v[75:76], v[6:7]
	;; [unrolled: 1-line block ×6, first 2 shown]
	s_waitcnt vmcnt(6) lgkmcnt(5)
	v_mul_f64 v[129:130], v[101:102], v[49:50]
	v_mul_f64 v[49:50], v[99:100], v[49:50]
	s_waitcnt vmcnt(5) lgkmcnt(4)
	v_mul_f64 v[131:132], v[105:106], v[53:54]
	v_mul_f64 v[53:54], v[103:104], v[53:54]
	v_fma_f64 v[13:14], v[75:76], v[4:5], -v[13:14]
	v_fma_f64 v[75:76], v[77:78], v[4:5], v[6:7]
	s_waitcnt vmcnt(4) lgkmcnt(3)
	v_mul_f64 v[77:78], v[109:110], v[57:58]
	v_mul_f64 v[57:58], v[107:108], v[57:58]
	ds_load_b128 v[4:7], v44 offset:9072
	v_fma_f64 v[79:80], v[79:80], v[17:18], -v[119:120]
	v_fma_f64 v[17:18], v[81:82], v[17:18], v[19:20]
	s_waitcnt vmcnt(3)
	v_mul_f64 v[19:20], v[97:98], v[61:62]
	v_mul_f64 v[61:62], v[95:96], v[61:62]
	s_waitcnt vmcnt(2) lgkmcnt(1)
	v_mul_f64 v[81:82], v[33:34], v[65:66]
	v_fma_f64 v[83:84], v[83:84], v[21:22], -v[121:122]
	v_fma_f64 v[21:22], v[85:86], v[21:22], v[23:24]
	v_mul_f64 v[23:24], v[31:32], v[65:66]
	v_fma_f64 v[65:66], v[87:88], v[25:26], -v[123:124]
	v_fma_f64 v[25:26], v[89:90], v[25:26], v[27:28]
	s_waitcnt vmcnt(1)
	v_mul_f64 v[27:28], v[113:114], v[69:70]
	v_mul_f64 v[69:70], v[111:112], v[69:70]
	v_fma_f64 v[87:88], v[91:92], v[29:30], -v[125:126]
	v_fma_f64 v[29:30], v[93:94], v[29:30], v[127:128]
	v_fma_f64 v[89:90], v[99:100], v[47:48], -v[129:130]
	v_fma_f64 v[47:48], v[101:102], v[47:48], v[49:50]
	;; [unrolled: 2-line block ×3, first 2 shown]
	s_waitcnt vmcnt(0) lgkmcnt(0)
	v_mul_f64 v[85:86], v[6:7], v[73:74]
	v_mul_f64 v[73:74], v[4:5], v[73:74]
	s_barrier
	buffer_gl0_inv
	v_fma_f64 v[53:54], v[107:108], v[55:56], -v[77:78]
	v_fma_f64 v[55:56], v[109:110], v[55:56], v[57:58]
	v_fma_f64 v[19:20], v[95:96], v[59:60], -v[19:20]
	v_fma_f64 v[57:58], v[97:98], v[59:60], v[61:62]
	v_fma_f64 v[31:32], v[31:32], v[63:64], -v[81:82]
	v_add_f64 v[59:60], v[75:76], v[21:22]
	v_fma_f64 v[23:24], v[33:34], v[63:64], v[23:24]
	v_add_f64 v[33:34], v[13:14], v[83:84]
	v_add_f64 v[61:62], v[79:80], v[65:66]
	;; [unrolled: 1-line block ×3, first 2 shown]
	v_fma_f64 v[27:28], v[111:112], v[67:68], -v[27:28]
	v_fma_f64 v[67:68], v[113:114], v[67:68], v[69:70]
	v_add_f64 v[65:66], v[79:80], -v[65:66]
	v_add_f64 v[17:18], v[17:18], -v[25:26]
	;; [unrolled: 1-line block ×3, first 2 shown]
	v_add_f64 v[69:70], v[87:88], v[49:50]
	v_add_f64 v[21:22], v[75:76], -v[21:22]
	v_add_f64 v[49:50], v[87:88], -v[49:50]
	v_fma_f64 v[4:5], v[4:5], v[71:72], -v[85:86]
	v_fma_f64 v[6:7], v[6:7], v[71:72], v[73:74]
	v_add_f64 v[71:72], v[29:30], v[51:52]
	v_add_f64 v[29:30], v[29:30], -v[51:52]
	v_add_f64 v[73:74], v[89:90], v[53:54]
	v_add_f64 v[77:78], v[47:48], v[55:56]
	v_add_f64 v[53:54], v[89:90], -v[53:54]
	v_add_f64 v[47:48], v[47:48], -v[55:56]
	v_add_f64 v[81:82], v[19:20], v[31:32]
	v_add_f64 v[19:20], v[31:32], -v[19:20]
	v_add_f64 v[85:86], v[57:58], v[23:24]
	;; [unrolled: 2-line block ×3, first 2 shown]
	v_add_f64 v[31:32], v[63:64], v[59:60]
	v_add_f64 v[91:92], v[65:66], -v[13:14]
	v_add_f64 v[93:94], v[17:18], -v[21:22]
	v_add_f64 v[55:56], v[27:28], v[4:5]
	v_add_f64 v[57:58], v[67:68], v[6:7]
	v_add_f64 v[27:28], v[4:5], -v[27:28]
	v_add_f64 v[67:68], v[6:7], -v[67:68]
	v_add_f64 v[4:5], v[73:74], v[69:70]
	v_add_f64 v[6:7], v[77:78], v[71:72]
	v_add_f64 v[99:100], v[53:54], -v[49:50]
	v_add_f64 v[101:102], v[47:48], -v[29:30]
	;; [unrolled: 1-line block ×8, first 2 shown]
	v_add_f64 v[25:26], v[81:82], v[25:26]
	v_add_f64 v[31:32], v[85:86], v[31:32]
	v_add_f64 v[33:34], v[61:62], -v[33:34]
	v_add_f64 v[59:60], v[63:64], -v[59:60]
	v_add_f64 v[61:62], v[19:20], v[65:66]
	v_add_f64 v[17:18], v[23:24], v[17:18]
	v_add_f64 v[19:20], v[13:14], -v[19:20]
	v_add_f64 v[23:24], v[21:22], -v[23:24]
	v_mul_f64 v[107:108], v[91:92], s[0:1]
	v_add_f64 v[81:82], v[69:70], -v[55:56]
	v_add_f64 v[85:86], v[71:72], -v[57:58]
	;; [unrolled: 1-line block ×4, first 2 shown]
	v_add_f64 v[53:54], v[27:28], v[53:54]
	v_add_f64 v[47:48], v[67:68], v[47:48]
	v_mul_f64 v[109:110], v[93:94], s[0:1]
	v_add_f64 v[27:28], v[49:50], -v[27:28]
	v_add_f64 v[67:68], v[29:30], -v[67:68]
	;; [unrolled: 1-line block ×4, first 2 shown]
	v_add_f64 v[103:104], v[55:56], v[4:5]
	v_add_f64 v[105:106], v[57:58], v[6:7]
	v_add_f64 v[55:56], v[55:56], -v[73:74]
	v_add_f64 v[57:58], v[57:58], -v[77:78]
	v_mul_f64 v[111:112], v[99:100], s[0:1]
	v_mul_f64 v[113:114], v[101:102], s[0:1]
	;; [unrolled: 1-line block ×8, first 2 shown]
	v_add_f64 v[4:5], v[115:116], v[25:26]
	v_add_f64 v[6:7], v[117:118], v[31:32]
	;; [unrolled: 1-line block ×4, first 2 shown]
	v_mul_f64 v[81:82], v[81:82], s[14:15]
	v_mul_f64 v[85:86], v[85:86], s[14:15]
	v_mul_f64 v[95:96], v[95:96], s[16:17]
	v_mul_f64 v[97:98], v[97:98], s[16:17]
	v_add_f64 v[21:22], v[53:54], v[49:50]
	v_add_f64 v[29:30], v[47:48], v[29:30]
	;; [unrolled: 1-line block ×4, first 2 shown]
	v_mul_f64 v[73:74], v[55:56], s[10:11]
	v_mul_f64 v[77:78], v[57:58], s[10:11]
	v_fma_f64 v[47:48], v[79:80], s[10:11], v[51:52]
	v_fma_f64 v[53:54], v[33:34], s[12:13], -v[65:66]
	v_fma_f64 v[65:66], v[19:20], s[22:23], v[87:88]
	v_fma_f64 v[49:50], v[83:84], s[10:11], v[63:64]
	v_fma_f64 v[61:62], v[59:60], s[12:13], -v[75:76]
	v_fma_f64 v[75:76], v[23:24], s[22:23], v[89:90]
	v_fma_f64 v[83:84], v[93:94], s[0:1], -v[89:90]
	v_fma_f64 v[25:26], v[25:26], s[4:5], v[4:5]
	v_fma_f64 v[31:32], v[31:32], s[4:5], v[6:7]
	v_fma_f64 v[79:80], v[91:92], s[0:1], -v[87:88]
	v_fma_f64 v[19:20], v[19:20], s[20:21], -v[107:108]
	;; [unrolled: 1-line block ×5, first 2 shown]
	v_fma_f64 v[55:56], v[55:56], s[10:11], v[81:82]
	v_fma_f64 v[57:58], v[57:58], s[10:11], v[85:86]
	;; [unrolled: 1-line block ×4, first 2 shown]
	v_fma_f64 v[27:28], v[27:28], s[20:21], -v[111:112]
	v_fma_f64 v[67:68], v[67:68], s[20:21], -v[113:114]
	;; [unrolled: 1-line block ×6, first 2 shown]
	v_fma_f64 v[91:92], v[103:104], s[4:5], v[0:1]
	v_fma_f64 v[93:94], v[105:106], s[4:5], v[2:3]
	v_fma_f64 v[69:70], v[69:70], s[12:13], -v[73:74]
	v_fma_f64 v[71:72], v[71:72], s[12:13], -v[77:78]
	v_fma_f64 v[65:66], v[13:14], s[24:25], v[65:66]
	v_fma_f64 v[73:74], v[17:18], s[24:25], v[75:76]
	;; [unrolled: 1-line block ×3, first 2 shown]
	v_add_f64 v[83:84], v[47:48], v[25:26]
	v_add_f64 v[95:96], v[49:50], v[31:32]
	v_fma_f64 v[75:76], v[13:14], s[24:25], v[79:80]
	v_fma_f64 v[13:14], v[13:14], s[24:25], v[19:20]
	;; [unrolled: 1-line block ×3, first 2 shown]
	v_add_f64 v[33:34], v[33:34], v[25:26]
	v_add_f64 v[49:50], v[51:52], v[31:32]
	v_add_f64 v[47:48], v[53:54], v[25:26]
	v_add_f64 v[31:32], v[61:62], v[31:32]
	v_fma_f64 v[97:98], v[21:22], s[24:25], v[59:60]
	v_fma_f64 v[99:100], v[29:30], s[24:25], v[63:64]
	;; [unrolled: 1-line block ×6, first 2 shown]
	v_add_f64 v[105:106], v[55:56], v[91:92]
	v_add_f64 v[107:108], v[57:58], v[93:94]
	;; [unrolled: 1-line block ×7, first 2 shown]
	v_add_f64 v[19:20], v[95:96], -v[65:66]
	v_add_f64 v[51:52], v[83:84], -v[73:74]
	v_add_f64 v[53:54], v[65:66], v[95:96]
	v_add_f64 v[21:22], v[79:80], v[33:34]
	v_add_f64 v[23:24], v[49:50], -v[13:14]
	v_add_f64 v[25:26], v[47:48], -v[77:78]
	v_add_f64 v[27:28], v[75:76], v[31:32]
	v_add_f64 v[29:30], v[77:78], v[47:48]
	v_add_f64 v[31:32], v[31:32], -v[75:76]
	v_add_f64 v[47:48], v[33:34], -v[79:80]
	v_add_f64 v[49:50], v[13:14], v[49:50]
	v_mul_u32_u24_e32 v13, 6, v38
	s_delay_alu instid0(VALU_DEP_1)
	v_lshlrev_b32_e32 v13, 4, v13
	v_add_f64 v[55:56], v[99:100], v[105:106]
	v_add_f64 v[57:58], v[107:108], -v[97:98]
	v_add_f64 v[59:60], v[103:104], v[81:82]
	v_add_f64 v[61:62], v[85:86], -v[101:102]
	v_add_f64 v[63:64], v[67:68], -v[89:90]
	v_add_f64 v[65:66], v[87:88], v[69:70]
	v_add_f64 v[67:68], v[89:90], v[67:68]
	v_add_f64 v[69:70], v[69:70], -v[87:88]
	v_add_f64 v[71:72], v[81:82], -v[103:104]
	v_add_f64 v[73:74], v[101:102], v[85:86]
	v_add_f64 v[75:76], v[105:106], -v[99:100]
	v_add_f64 v[77:78], v[97:98], v[107:108]
	ds_store_b128 v8, v[4:7]
	ds_store_b128 v8, v[17:20] offset:144
	ds_store_b128 v8, v[21:24] offset:288
	;; [unrolled: 1-line block ×6, first 2 shown]
	ds_store_b128 v9, v[0:3]
	ds_store_b128 v9, v[55:58] offset:144
	ds_store_b128 v9, v[59:62] offset:288
	;; [unrolled: 1-line block ×6, first 2 shown]
	s_waitcnt lgkmcnt(0)
	s_barrier
	buffer_gl0_inv
	s_clause 0x5
	global_load_b128 v[4:7], v13, s[8:9] offset:864
	global_load_b128 v[8:11], v13, s[8:9] offset:880
	;; [unrolled: 1-line block ×6, first 2 shown]
	ds_load_b128 v[47:50], v12 offset:2016
	ds_load_b128 v[51:54], v12 offset:4032
	;; [unrolled: 1-line block ×7, first 2 shown]
	ds_load_b128 v[0:3], v16
	ds_load_b128 v[75:78], v44 offset:11088
	ds_load_b128 v[79:82], v12 offset:6048
	ds_load_b128 v[83:86], v44 offset:7056
	ds_load_b128 v[87:90], v44
	ds_load_b128 v[91:94], v44 offset:8064
	ds_load_b128 v[95:98], v44 offset:9072
	s_waitcnt vmcnt(0) lgkmcnt(0)
	s_barrier
	buffer_gl0_inv
	v_mul_f64 v[13:14], v[49:50], v[6:7]
	v_mul_f64 v[33:34], v[47:48], v[6:7]
	;; [unrolled: 1-line block ×20, first 2 shown]
	v_fma_f64 v[13:14], v[47:48], v[4:5], -v[13:14]
	v_fma_f64 v[33:34], v[49:50], v[4:5], v[33:34]
	v_fma_f64 v[47:48], v[51:52], v[8:9], -v[99:100]
	v_fma_f64 v[49:50], v[53:54], v[8:9], v[101:102]
	;; [unrolled: 2-line block ×4, first 2 shown]
	v_mul_f64 v[59:60], v[85:86], v[27:28]
	v_mul_f64 v[27:28], v[83:84], v[27:28]
	;; [unrolled: 1-line block ×4, first 2 shown]
	v_fma_f64 v[63:64], v[63:64], v[4:5], -v[111:112]
	v_fma_f64 v[4:5], v[65:66], v[4:5], v[6:7]
	v_fma_f64 v[6:7], v[67:68], v[8:9], -v[113:114]
	v_fma_f64 v[8:9], v[69:70], v[8:9], v[10:11]
	;; [unrolled: 2-line block ×6, first 2 shown]
	v_add_f64 v[71:72], v[13:14], v[51:52]
	v_add_f64 v[73:74], v[33:34], v[53:54]
	;; [unrolled: 1-line block ×4, first 2 shown]
	v_fma_f64 v[59:60], v[83:84], v[25:26], -v[59:60]
	v_fma_f64 v[25:26], v[85:86], v[25:26], v[27:28]
	v_fma_f64 v[27:28], v[95:96], v[29:30], -v[61:62]
	v_fma_f64 v[29:30], v[97:98], v[29:30], v[31:32]
	v_add_f64 v[47:48], v[47:48], -v[55:56]
	v_add_f64 v[49:50], v[49:50], -v[57:58]
	;; [unrolled: 1-line block ×4, first 2 shown]
	v_add_f64 v[31:32], v[63:64], v[10:11]
	v_add_f64 v[61:62], v[4:5], v[17:18]
	;; [unrolled: 1-line block ×4, first 2 shown]
	v_add_f64 v[6:7], v[6:7], -v[19:20]
	v_add_f64 v[8:9], v[8:9], -v[21:22]
	v_add_f64 v[83:84], v[23:24], v[67:68]
	v_add_f64 v[85:86], v[65:66], v[69:70]
	v_add_f64 v[23:24], v[67:68], -v[23:24]
	v_add_f64 v[55:56], v[69:70], -v[65:66]
	;; [unrolled: 1-line block ×4, first 2 shown]
	v_add_f64 v[51:52], v[75:76], v[71:72]
	v_add_f64 v[53:54], v[77:78], v[73:74]
	;; [unrolled: 1-line block ×4, first 2 shown]
	v_add_f64 v[27:28], v[27:28], -v[59:60]
	v_add_f64 v[25:26], v[29:30], -v[25:26]
	;; [unrolled: 1-line block ×4, first 2 shown]
	v_add_f64 v[4:5], v[79:80], v[31:32]
	v_add_f64 v[29:30], v[81:82], v[61:62]
	v_add_f64 v[57:58], v[71:72], -v[83:84]
	v_add_f64 v[59:60], v[73:74], -v[85:86]
	;; [unrolled: 1-line block ×9, first 2 shown]
	v_add_f64 v[47:48], v[23:24], v[47:48]
	v_add_f64 v[49:50], v[55:56], v[49:50]
	v_add_f64 v[23:24], v[13:14], -v[23:24]
	v_add_f64 v[55:56], v[33:34], -v[55:56]
	;; [unrolled: 1-line block ×3, first 2 shown]
	v_add_f64 v[51:52], v[83:84], v[51:52]
	v_add_f64 v[53:54], v[85:86], v[53:54]
	v_add_f64 v[83:84], v[31:32], -v[19:20]
	v_add_f64 v[85:86], v[61:62], -v[21:22]
	;; [unrolled: 1-line block ×4, first 2 shown]
	v_add_f64 v[75:76], v[27:28], v[6:7]
	v_add_f64 v[8:9], v[25:26], v[8:9]
	v_mul_f64 v[109:110], v[93:94], s[0:1]
	v_mul_f64 v[107:108], v[91:92], s[0:1]
	v_add_f64 v[103:104], v[19:20], v[4:5]
	v_add_f64 v[29:30], v[21:22], v[29:30]
	v_add_f64 v[19:20], v[19:20], -v[79:80]
	v_add_f64 v[21:22], v[21:22], -v[81:82]
	v_mul_f64 v[57:58], v[57:58], s[14:15]
	v_mul_f64 v[59:60], v[59:60], s[14:15]
	;; [unrolled: 1-line block ×6, first 2 shown]
	v_add_f64 v[27:28], v[10:11], -v[27:28]
	v_add_f64 v[25:26], v[17:18], -v[25:26]
	;; [unrolled: 1-line block ×4, first 2 shown]
	v_add_f64 v[13:14], v[47:48], v[13:14]
	v_add_f64 v[33:34], v[49:50], v[33:34]
	;; [unrolled: 1-line block ×4, first 2 shown]
	v_mul_f64 v[83:84], v[83:84], s[14:15]
	v_mul_f64 v[85:86], v[85:86], s[14:15]
	;; [unrolled: 1-line block ×6, first 2 shown]
	v_add_f64 v[10:11], v[75:76], v[10:11]
	v_add_f64 v[8:9], v[8:9], v[17:18]
	;; [unrolled: 1-line block ×4, first 2 shown]
	v_mul_f64 v[79:80], v[19:20], s[10:11]
	v_mul_f64 v[81:82], v[21:22], s[10:11]
	v_fma_f64 v[17:18], v[63:64], s[10:11], v[57:58]
	v_fma_f64 v[47:48], v[65:66], s[10:11], v[59:60]
	;; [unrolled: 1-line block ×4, first 2 shown]
	v_fma_f64 v[69:70], v[93:94], s[0:1], -v[69:70]
	v_fma_f64 v[55:56], v[55:56], s[20:21], -v[109:110]
	;; [unrolled: 1-line block ×8, first 2 shown]
	v_fma_f64 v[51:52], v[51:52], s[4:5], v[4:5]
	v_fma_f64 v[53:54], v[53:54], s[4:5], v[6:7]
	;; [unrolled: 1-line block ×6, first 2 shown]
	v_fma_f64 v[77:78], v[99:100], s[0:1], -v[87:88]
	v_fma_f64 v[87:88], v[101:102], s[0:1], -v[89:90]
	;; [unrolled: 1-line block ×4, first 2 shown]
	v_fma_f64 v[89:90], v[103:104], s[4:5], v[0:1]
	v_fma_f64 v[29:30], v[29:30], s[4:5], v[2:3]
	v_fma_f64 v[83:84], v[31:32], s[18:19], -v[83:84]
	v_fma_f64 v[85:86], v[61:62], s[18:19], -v[85:86]
	;; [unrolled: 1-line block ×4, first 2 shown]
	v_fma_f64 v[65:66], v[13:14], s[24:25], v[65:66]
	v_fma_f64 v[75:76], v[33:34], s[24:25], v[75:76]
	;; [unrolled: 1-line block ×6, first 2 shown]
	s_add_u32 s1, s8, 0x3690
	s_addc_u32 s4, s9, 0
	s_mov_b32 s5, exec_lo
	v_add_f64 v[55:56], v[17:18], v[51:52]
	v_add_f64 v[79:80], v[47:48], v[53:54]
	;; [unrolled: 1-line block ×6, first 2 shown]
	v_fma_f64 v[81:82], v[10:11], s[24:25], v[71:72]
	v_fma_f64 v[91:92], v[8:9], s[24:25], v[73:74]
	;; [unrolled: 1-line block ×6, first 2 shown]
	v_add_f64 v[87:88], v[19:20], v[89:90]
	v_add_f64 v[93:94], v[21:22], v[29:30]
	;; [unrolled: 1-line block ×6, first 2 shown]
	v_lshlrev_b64 v[8:9], 4, v[38:39]
	s_delay_alu instid0(VALU_DEP_1) | instskip(NEXT) | instid1(VALU_DEP_1)
	v_add_co_u32 v15, s0, s8, v8
	v_add_co_ci_u32_e64 v35, s0, s9, v9, s0
	v_add_f64 v[17:18], v[75:76], v[55:56]
	v_add_f64 v[19:20], v[79:80], -v[65:66]
	v_add_f64 v[21:22], v[33:34], v[47:48]
	v_add_f64 v[23:24], v[57:58], -v[13:14]
	v_add_f64 v[25:26], v[49:50], -v[69:70]
	v_add_f64 v[27:28], v[67:68], v[51:52]
	v_add_f64 v[29:30], v[69:70], v[49:50]
	v_add_f64 v[31:32], v[51:52], -v[67:68]
	v_add_f64 v[47:48], v[47:48], -v[33:34]
	v_add_f64 v[49:50], v[13:14], v[57:58]
	v_add_f64 v[51:52], v[55:56], -v[75:76]
	v_add_f64 v[53:54], v[65:66], v[79:80]
	v_add_f64 v[55:56], v[91:92], v[87:88]
	v_add_f64 v[57:58], v[93:94], -v[81:82]
	v_add_f64 v[59:60], v[77:78], v[83:84]
	v_add_f64 v[61:62], v[85:86], -v[10:11]
	v_add_f64 v[63:64], v[89:90], -v[73:74]
	v_add_f64 v[65:66], v[71:72], v[95:96]
	v_add_f64 v[67:68], v[73:74], v[89:90]
	v_add_f64 v[69:70], v[95:96], -v[71:72]
	v_add_f64 v[71:72], v[83:84], -v[77:78]
	v_add_f64 v[73:74], v[10:11], v[85:86]
	v_add_f64 v[75:76], v[87:88], -v[91:92]
	v_add_f64 v[77:78], v[81:82], v[93:94]
	v_lshlrev_b64 v[10:11], 4, v[42:43]
	v_add_co_u32 v13, s0, 0x1000, v15
	s_delay_alu instid0(VALU_DEP_1)
	v_add_co_ci_u32_e64 v14, s0, 0, v35, s0
	ds_store_b128 v44, v[4:7]
	ds_store_b128 v44, v[17:20] offset:1008
	ds_store_b128 v44, v[21:24] offset:2016
	;; [unrolled: 1-line block ×13, first 2 shown]
	v_add_co_u32 v39, s0, s8, v10
	s_delay_alu instid0(VALU_DEP_1) | instskip(SKIP_1) | instid1(VALU_DEP_1)
	v_add_co_ci_u32_e64 v43, s0, s9, v11, s0
	v_add_co_u32 v33, s0, 0x2000, v15
	v_add_co_ci_u32_e64 v34, s0, 0, v35, s0
	s_delay_alu instid0(VALU_DEP_4) | instskip(NEXT) | instid1(VALU_DEP_1)
	v_add_co_u32 v42, s0, 0x1000, v39
	v_add_co_ci_u32_e64 v43, s0, 0, v43, s0
	s_waitcnt lgkmcnt(0)
	s_barrier
	buffer_gl0_inv
	s_clause 0x3
	global_load_b128 v[0:3], v[13:14], off offset:2816
	global_load_b128 v[4:7], v[42:43], off offset:2816
	;; [unrolled: 1-line block ×4, first 2 shown]
	v_add_co_u32 v13, s0, 0x3000, v15
	s_delay_alu instid0(VALU_DEP_1)
	v_add_co_ci_u32_e64 v14, s0, 0, v35, s0
	s_clause 0x2
	global_load_b128 v[25:28], v[33:34], off offset:2752
	global_load_b128 v[29:32], v[33:34], off offset:3760
	global_load_b128 v[47:50], v[13:14], off offset:672
	ds_load_b128 v[51:54], v44 offset:7056
	ds_load_b128 v[55:58], v44 offset:8064
	ds_load_b128 v[59:62], v44 offset:9072
	ds_load_b128 v[63:66], v44 offset:10080
	ds_load_b128 v[67:70], v44 offset:11088
	ds_load_b128 v[71:74], v44 offset:12096
	ds_load_b128 v[75:78], v44 offset:13104
	ds_load_b128 v[79:82], v44 offset:5040
	s_waitcnt vmcnt(6) lgkmcnt(7)
	v_mul_f64 v[13:14], v[53:54], v[2:3]
	v_mul_f64 v[2:3], v[51:52], v[2:3]
	s_waitcnt vmcnt(5) lgkmcnt(6)
	v_mul_f64 v[33:34], v[57:58], v[6:7]
	v_mul_f64 v[6:7], v[55:56], v[6:7]
	;; [unrolled: 3-line block ×7, first 2 shown]
	v_fma_f64 v[13:14], v[51:52], v[0:1], -v[13:14]
	v_fma_f64 v[51:52], v[53:54], v[0:1], v[2:3]
	v_fma_f64 v[33:34], v[55:56], v[4:5], -v[33:34]
	v_fma_f64 v[53:54], v[57:58], v[4:5], v[6:7]
	;; [unrolled: 2-line block ×7, first 2 shown]
	ds_load_b128 v[0:3], v44
	ds_load_b128 v[4:7], v16
	ds_load_b128 v[17:20], v12 offset:2016
	ds_load_b128 v[21:24], v44 offset:3024
	;; [unrolled: 1-line block ×4, first 2 shown]
	s_waitcnt lgkmcnt(0)
	s_barrier
	buffer_gl0_inv
	v_add_f64 v[47:48], v[0:1], -v[13:14]
	v_add_f64 v[49:50], v[2:3], -v[51:52]
	;; [unrolled: 1-line block ×14, first 2 shown]
                                        ; implicit-def: $vgpr14_vgpr15
	v_fma_f64 v[0:1], v[0:1], 2.0, -v[47:48]
	v_fma_f64 v[2:3], v[2:3], 2.0, -v[49:50]
	;; [unrolled: 1-line block ×14, first 2 shown]
	ds_store_b128 v44, v[0:3]
	ds_store_b128 v44, v[47:50] offset:7056
	ds_store_b128 v16, v[4:7]
	ds_store_b128 v16, v[51:54] offset:7056
	ds_store_b128 v12, v[17:20] offset:2016
	;; [unrolled: 1-line block ×11, first 2 shown]
	s_waitcnt lgkmcnt(0)
	s_barrier
	buffer_gl0_inv
	ds_load_b128 v[4:7], v44
	v_lshlrev_b32_e32 v0, 4, v38
                                        ; implicit-def: $vgpr12_vgpr13
	s_delay_alu instid0(VALU_DEP_1)
	v_sub_nc_u32_e32 v17, 0, v0
                                        ; implicit-def: $vgpr0_vgpr1
	v_cmpx_ne_u32_e32 0, v38
	s_xor_b32 s5, exec_lo, s5
	s_cbranch_execz .LBB0_17
; %bb.16:
	v_add_co_u32 v0, s0, s1, v8
	s_delay_alu instid0(VALU_DEP_1)
	v_add_co_ci_u32_e64 v1, s0, s4, v9, s0
	global_load_b128 v[18:21], v[0:1], off
	ds_load_b128 v[0:3], v17 offset:14112
	s_waitcnt lgkmcnt(0)
	v_add_f64 v[12:13], v[4:5], -v[0:1]
	v_add_f64 v[14:15], v[6:7], v[2:3]
	v_add_f64 v[2:3], v[6:7], -v[2:3]
	v_add_f64 v[0:1], v[4:5], v[0:1]
	s_delay_alu instid0(VALU_DEP_4) | instskip(NEXT) | instid1(VALU_DEP_4)
	v_mul_f64 v[6:7], v[12:13], 0.5
	v_mul_f64 v[4:5], v[14:15], 0.5
	s_delay_alu instid0(VALU_DEP_4) | instskip(SKIP_1) | instid1(VALU_DEP_3)
	v_mul_f64 v[2:3], v[2:3], 0.5
	s_waitcnt vmcnt(0)
	v_mul_f64 v[12:13], v[6:7], v[20:21]
	s_delay_alu instid0(VALU_DEP_2) | instskip(SKIP_1) | instid1(VALU_DEP_3)
	v_fma_f64 v[14:15], v[4:5], v[20:21], v[2:3]
	v_fma_f64 v[2:3], v[4:5], v[20:21], -v[2:3]
	v_fma_f64 v[22:23], v[0:1], 0.5, v[12:13]
	v_fma_f64 v[0:1], v[0:1], 0.5, -v[12:13]
	s_delay_alu instid0(VALU_DEP_4) | instskip(NEXT) | instid1(VALU_DEP_4)
	v_fma_f64 v[14:15], -v[18:19], v[6:7], v[14:15]
	v_fma_f64 v[2:3], -v[18:19], v[6:7], v[2:3]
	s_delay_alu instid0(VALU_DEP_4) | instskip(NEXT) | instid1(VALU_DEP_4)
	v_fma_f64 v[12:13], v[4:5], v[18:19], v[22:23]
	v_fma_f64 v[0:1], -v[4:5], v[18:19], v[0:1]
                                        ; implicit-def: $vgpr4_vgpr5
.LBB0_17:
	s_or_saveexec_b32 s0, s5
	v_sub_nc_u32_e32 v18, 0, v46
	s_xor_b32 exec_lo, exec_lo, s0
	s_cbranch_execz .LBB0_19
; %bb.18:
	s_waitcnt lgkmcnt(0)
	v_add_f64 v[12:13], v[4:5], v[6:7]
	v_add_f64 v[0:1], v[4:5], -v[6:7]
	v_mov_b32_e32 v6, 0
	v_mov_b32_e32 v14, 0
	;; [unrolled: 1-line block ×3, first 2 shown]
	s_delay_alu instid0(VALU_DEP_2)
	v_mov_b32_e32 v2, v14
	ds_load_b64 v[4:5], v6 offset:7064
	v_mov_b32_e32 v3, v15
	s_waitcnt lgkmcnt(0)
	v_xor_b32_e32 v5, 0x80000000, v5
	ds_store_b64 v6, v[4:5] offset:7064
.LBB0_19:
	s_or_b32 exec_lo, exec_lo, s0
	s_waitcnt lgkmcnt(0)
	v_add_co_u32 v4, s0, s1, v10
	s_delay_alu instid0(VALU_DEP_1) | instskip(SKIP_1) | instid1(VALU_DEP_1)
	v_add_co_ci_u32_e64 v5, s0, s4, v11, s0
	v_add_co_u32 v19, s0, s1, v8
	v_add_co_ci_u32_e64 v20, s0, s4, v9, s0
	global_load_b128 v[4:7], v[4:5], off
	v_add_nc_u32_e32 v25, v45, v18
	v_add_co_u32 v18, s0, 0x1000, v19
	global_load_b128 v[8:11], v[19:20], off offset:2016
	ds_store_2addr_b64 v44, v[12:13], v[14:15] offset1:1
	ds_store_b128 v17, v[0:3] offset:14112
	ds_load_b128 v[0:3], v16
	ds_load_b128 v[12:15], v17 offset:13104
	s_waitcnt lgkmcnt(0)
	v_add_f64 v[21:22], v[0:1], -v[12:13]
	v_add_f64 v[23:24], v[2:3], v[14:15]
	v_add_f64 v[2:3], v[2:3], -v[14:15]
	v_add_f64 v[0:1], v[0:1], v[12:13]
	s_delay_alu instid0(VALU_DEP_4) | instskip(NEXT) | instid1(VALU_DEP_4)
	v_mul_f64 v[14:15], v[21:22], 0.5
	v_mul_f64 v[21:22], v[23:24], 0.5
	s_delay_alu instid0(VALU_DEP_4) | instskip(SKIP_1) | instid1(VALU_DEP_3)
	v_mul_f64 v[2:3], v[2:3], 0.5
	s_waitcnt vmcnt(1)
	v_mul_f64 v[12:13], v[14:15], v[6:7]
	s_delay_alu instid0(VALU_DEP_2) | instskip(SKIP_1) | instid1(VALU_DEP_3)
	v_fma_f64 v[23:24], v[21:22], v[6:7], v[2:3]
	v_fma_f64 v[2:3], v[21:22], v[6:7], -v[2:3]
	v_fma_f64 v[6:7], v[0:1], 0.5, v[12:13]
	v_fma_f64 v[0:1], v[0:1], 0.5, -v[12:13]
	s_delay_alu instid0(VALU_DEP_4) | instskip(NEXT) | instid1(VALU_DEP_4)
	v_fma_f64 v[12:13], -v[4:5], v[14:15], v[23:24]
	v_fma_f64 v[2:3], -v[4:5], v[14:15], v[2:3]
	s_delay_alu instid0(VALU_DEP_4) | instskip(NEXT) | instid1(VALU_DEP_4)
	v_fma_f64 v[14:15], v[21:22], v[4:5], v[6:7]
	v_fma_f64 v[0:1], -v[21:22], v[4:5], v[0:1]
	global_load_b128 v[4:7], v[19:20], off offset:3024
	ds_store_2addr_b64 v16, v[14:15], v[12:13] offset1:1
	ds_store_b128 v17, v[0:3] offset:13104
	ds_load_b128 v[0:3], v25 offset:2016
	ds_load_b128 v[12:15], v17 offset:12096
	v_add_nc_u32_e32 v16, 0x800, v44
	s_waitcnt lgkmcnt(0)
	v_add_f64 v[21:22], v[0:1], -v[12:13]
	v_add_f64 v[23:24], v[2:3], v[14:15]
	v_add_f64 v[2:3], v[2:3], -v[14:15]
	v_add_f64 v[0:1], v[0:1], v[12:13]
	s_delay_alu instid0(VALU_DEP_4) | instskip(NEXT) | instid1(VALU_DEP_4)
	v_mul_f64 v[14:15], v[21:22], 0.5
	v_mul_f64 v[21:22], v[23:24], 0.5
	s_delay_alu instid0(VALU_DEP_4) | instskip(SKIP_1) | instid1(VALU_DEP_3)
	v_mul_f64 v[2:3], v[2:3], 0.5
	s_waitcnt vmcnt(1)
	v_mul_f64 v[12:13], v[14:15], v[10:11]
	s_delay_alu instid0(VALU_DEP_2) | instskip(SKIP_1) | instid1(VALU_DEP_3)
	v_fma_f64 v[23:24], v[21:22], v[10:11], v[2:3]
	v_fma_f64 v[2:3], v[21:22], v[10:11], -v[2:3]
	v_fma_f64 v[10:11], v[0:1], 0.5, v[12:13]
	v_fma_f64 v[0:1], v[0:1], 0.5, -v[12:13]
	s_delay_alu instid0(VALU_DEP_4) | instskip(NEXT) | instid1(VALU_DEP_4)
	v_fma_f64 v[12:13], -v[8:9], v[14:15], v[23:24]
	v_fma_f64 v[14:15], -v[8:9], v[14:15], v[2:3]
	s_delay_alu instid0(VALU_DEP_4) | instskip(NEXT) | instid1(VALU_DEP_4)
	v_fma_f64 v[10:11], v[21:22], v[8:9], v[10:11]
	v_fma_f64 v[8:9], -v[21:22], v[8:9], v[0:1]
	global_load_b128 v[0:3], v[19:20], off offset:4032
	v_add_co_ci_u32_e64 v19, s0, 0, v20, s0
	ds_store_b64 v25, v[12:13] offset:2024
	ds_store_b64 v17, v[14:15] offset:12104
	;; [unrolled: 1-line block ×4, first 2 shown]
	ds_load_b128 v[8:11], v44 offset:3024
	ds_load_b128 v[12:15], v17 offset:11088
	s_waitcnt lgkmcnt(0)
	v_add_f64 v[21:22], v[8:9], -v[12:13]
	v_add_f64 v[23:24], v[10:11], v[14:15]
	v_add_f64 v[10:11], v[10:11], -v[14:15]
	v_add_f64 v[8:9], v[8:9], v[12:13]
	s_delay_alu instid0(VALU_DEP_4) | instskip(NEXT) | instid1(VALU_DEP_4)
	v_mul_f64 v[14:15], v[21:22], 0.5
	v_mul_f64 v[21:22], v[23:24], 0.5
	s_delay_alu instid0(VALU_DEP_4) | instskip(SKIP_1) | instid1(VALU_DEP_3)
	v_mul_f64 v[10:11], v[10:11], 0.5
	s_waitcnt vmcnt(1)
	v_mul_f64 v[12:13], v[14:15], v[6:7]
	s_delay_alu instid0(VALU_DEP_2) | instskip(SKIP_1) | instid1(VALU_DEP_3)
	v_fma_f64 v[23:24], v[21:22], v[6:7], v[10:11]
	v_fma_f64 v[6:7], v[21:22], v[6:7], -v[10:11]
	v_fma_f64 v[10:11], v[8:9], 0.5, v[12:13]
	v_fma_f64 v[8:9], v[8:9], 0.5, -v[12:13]
	s_delay_alu instid0(VALU_DEP_4) | instskip(NEXT) | instid1(VALU_DEP_4)
	v_fma_f64 v[12:13], -v[4:5], v[14:15], v[23:24]
	v_fma_f64 v[6:7], -v[4:5], v[14:15], v[6:7]
	s_delay_alu instid0(VALU_DEP_4) | instskip(NEXT) | instid1(VALU_DEP_4)
	v_fma_f64 v[14:15], v[21:22], v[4:5], v[10:11]
	v_fma_f64 v[4:5], -v[21:22], v[4:5], v[8:9]
	global_load_b128 v[8:11], v[18:19], off offset:944
	ds_store_2addr_b64 v16, v[14:15], v[12:13] offset0:122 offset1:123
	ds_store_b128 v17, v[4:7] offset:11088
	ds_load_b128 v[4:7], v25 offset:4032
	ds_load_b128 v[12:15], v17 offset:10080
	s_waitcnt lgkmcnt(0)
	v_add_f64 v[20:21], v[4:5], -v[12:13]
	v_add_f64 v[22:23], v[6:7], v[14:15]
	v_add_f64 v[6:7], v[6:7], -v[14:15]
	v_add_f64 v[4:5], v[4:5], v[12:13]
	s_delay_alu instid0(VALU_DEP_4) | instskip(NEXT) | instid1(VALU_DEP_4)
	v_mul_f64 v[14:15], v[20:21], 0.5
	v_mul_f64 v[20:21], v[22:23], 0.5
	s_delay_alu instid0(VALU_DEP_4) | instskip(SKIP_1) | instid1(VALU_DEP_3)
	v_mul_f64 v[6:7], v[6:7], 0.5
	s_waitcnt vmcnt(1)
	v_mul_f64 v[12:13], v[14:15], v[2:3]
	s_delay_alu instid0(VALU_DEP_2) | instskip(SKIP_1) | instid1(VALU_DEP_3)
	v_fma_f64 v[22:23], v[20:21], v[2:3], v[6:7]
	v_fma_f64 v[2:3], v[20:21], v[2:3], -v[6:7]
	v_fma_f64 v[6:7], v[4:5], 0.5, v[12:13]
	v_fma_f64 v[4:5], v[4:5], 0.5, -v[12:13]
	s_delay_alu instid0(VALU_DEP_4) | instskip(NEXT) | instid1(VALU_DEP_4)
	v_fma_f64 v[12:13], -v[0:1], v[14:15], v[22:23]
	v_fma_f64 v[14:15], -v[0:1], v[14:15], v[2:3]
	s_delay_alu instid0(VALU_DEP_4) | instskip(NEXT) | instid1(VALU_DEP_4)
	v_fma_f64 v[6:7], v[20:21], v[0:1], v[6:7]
	v_fma_f64 v[4:5], -v[20:21], v[0:1], v[4:5]
	global_load_b128 v[0:3], v[18:19], off offset:1952
	ds_store_b64 v25, v[12:13] offset:4040
	ds_store_b64 v17, v[14:15] offset:10088
	;; [unrolled: 1-line block ×4, first 2 shown]
	ds_load_b128 v[4:7], v44 offset:5040
	ds_load_b128 v[12:15], v17 offset:9072
	s_waitcnt lgkmcnt(0)
	v_add_f64 v[18:19], v[4:5], -v[12:13]
	v_add_f64 v[20:21], v[6:7], v[14:15]
	v_add_f64 v[6:7], v[6:7], -v[14:15]
	v_add_f64 v[4:5], v[4:5], v[12:13]
	s_delay_alu instid0(VALU_DEP_4) | instskip(NEXT) | instid1(VALU_DEP_4)
	v_mul_f64 v[14:15], v[18:19], 0.5
	v_mul_f64 v[18:19], v[20:21], 0.5
	s_delay_alu instid0(VALU_DEP_4) | instskip(SKIP_1) | instid1(VALU_DEP_3)
	v_mul_f64 v[6:7], v[6:7], 0.5
	s_waitcnt vmcnt(1)
	v_mul_f64 v[12:13], v[14:15], v[10:11]
	s_delay_alu instid0(VALU_DEP_2) | instskip(SKIP_1) | instid1(VALU_DEP_3)
	v_fma_f64 v[20:21], v[18:19], v[10:11], v[6:7]
	v_fma_f64 v[6:7], v[18:19], v[10:11], -v[6:7]
	v_fma_f64 v[10:11], v[4:5], 0.5, v[12:13]
	v_fma_f64 v[4:5], v[4:5], 0.5, -v[12:13]
	s_delay_alu instid0(VALU_DEP_4) | instskip(NEXT) | instid1(VALU_DEP_4)
	v_fma_f64 v[12:13], -v[8:9], v[14:15], v[20:21]
	v_fma_f64 v[6:7], -v[8:9], v[14:15], v[6:7]
	s_delay_alu instid0(VALU_DEP_4) | instskip(NEXT) | instid1(VALU_DEP_4)
	v_fma_f64 v[10:11], v[18:19], v[8:9], v[10:11]
	v_fma_f64 v[4:5], -v[18:19], v[8:9], v[4:5]
	v_add_nc_u32_e32 v8, 0x1000, v44
	ds_store_2addr_b64 v8, v[10:11], v[12:13] offset0:118 offset1:119
	ds_store_b128 v17, v[4:7] offset:9072
	ds_load_b128 v[4:7], v25 offset:6048
	ds_load_b128 v[8:11], v17 offset:8064
	s_waitcnt lgkmcnt(0)
	v_add_f64 v[12:13], v[4:5], -v[8:9]
	v_add_f64 v[14:15], v[6:7], v[10:11]
	v_add_f64 v[6:7], v[6:7], -v[10:11]
	v_add_f64 v[4:5], v[4:5], v[8:9]
	s_delay_alu instid0(VALU_DEP_4) | instskip(NEXT) | instid1(VALU_DEP_4)
	v_mul_f64 v[10:11], v[12:13], 0.5
	v_mul_f64 v[12:13], v[14:15], 0.5
	s_delay_alu instid0(VALU_DEP_4) | instskip(SKIP_1) | instid1(VALU_DEP_3)
	v_mul_f64 v[6:7], v[6:7], 0.5
	s_waitcnt vmcnt(0)
	v_mul_f64 v[8:9], v[10:11], v[2:3]
	s_delay_alu instid0(VALU_DEP_2) | instskip(SKIP_1) | instid1(VALU_DEP_3)
	v_fma_f64 v[14:15], v[12:13], v[2:3], v[6:7]
	v_fma_f64 v[2:3], v[12:13], v[2:3], -v[6:7]
	v_fma_f64 v[6:7], v[4:5], 0.5, v[8:9]
	v_fma_f64 v[4:5], v[4:5], 0.5, -v[8:9]
	s_delay_alu instid0(VALU_DEP_4) | instskip(NEXT) | instid1(VALU_DEP_4)
	v_fma_f64 v[8:9], -v[0:1], v[10:11], v[14:15]
	v_fma_f64 v[2:3], -v[0:1], v[10:11], v[2:3]
	s_delay_alu instid0(VALU_DEP_4) | instskip(NEXT) | instid1(VALU_DEP_4)
	v_fma_f64 v[6:7], v[12:13], v[0:1], v[6:7]
	v_fma_f64 v[0:1], -v[12:13], v[0:1], v[4:5]
	ds_store_b64 v25, v[8:9] offset:6056
	ds_store_b64 v17, v[2:3] offset:8072
	ds_store_b64 v25, v[6:7] offset:6048
	ds_store_b64 v17, v[0:1] offset:8064
	s_waitcnt lgkmcnt(0)
	s_barrier
	buffer_gl0_inv
	s_and_saveexec_b32 s0, vcc_lo
	s_cbranch_execz .LBB0_22
; %bb.20:
	v_mul_lo_u32 v2, s3, v40
	v_mul_lo_u32 v3, s2, v41
	v_mad_u64_u32 v[0:1], null, s2, v40, 0
	v_lshl_add_u32 v28, v38, 4, 0
	v_dual_mov_b32 v39, 0 :: v_dual_add_nc_u32 v12, 63, v38
	v_lshlrev_b64 v[10:11], 4, v[36:37]
	v_add_nc_u32_e32 v26, 0x17a, v38
	v_add_nc_u32_e32 v24, 0x13b, v38
	v_add3_u32 v1, v1, v3, v2
	ds_load_b128 v[2:5], v28
	ds_load_b128 v[6:9], v28 offset:1008
	v_mov_b32_e32 v13, v39
	v_lshlrev_b64 v[14:15], 4, v[38:39]
	v_mov_b32_e32 v25, v39
	v_lshlrev_b64 v[0:1], 4, v[0:1]
	v_mov_b32_e32 v27, v39
	s_delay_alu instid0(VALU_DEP_3) | instskip(NEXT) | instid1(VALU_DEP_3)
	v_lshlrev_b64 v[24:25], 4, v[24:25]
	v_add_co_u32 v0, vcc_lo, s6, v0
	s_delay_alu instid0(VALU_DEP_4) | instskip(NEXT) | instid1(VALU_DEP_2)
	v_add_co_ci_u32_e32 v1, vcc_lo, s7, v1, vcc_lo
	v_add_co_u32 v0, vcc_lo, v0, v10
	s_delay_alu instid0(VALU_DEP_2) | instskip(SKIP_1) | instid1(VALU_DEP_3)
	v_add_co_ci_u32_e32 v1, vcc_lo, v1, v11, vcc_lo
	v_lshlrev_b64 v[10:11], 4, v[12:13]
	v_add_co_u32 v12, vcc_lo, v0, v14
	s_delay_alu instid0(VALU_DEP_3) | instskip(SKIP_1) | instid1(VALU_DEP_4)
	v_add_co_ci_u32_e32 v13, vcc_lo, v1, v15, vcc_lo
	v_add_nc_u32_e32 v14, 0x7e, v38
	v_add_co_u32 v10, vcc_lo, v0, v10
	v_mov_b32_e32 v15, v39
	v_add_co_ci_u32_e32 v11, vcc_lo, v1, v11, vcc_lo
	s_waitcnt lgkmcnt(1)
	global_store_b128 v[12:13], v[2:5], off
	s_waitcnt lgkmcnt(0)
	global_store_b128 v[10:11], v[6:9], off
	v_add_nc_u32_e32 v10, 0xbd, v38
	v_lshlrev_b64 v[2:3], 4, v[14:15]
	v_dual_mov_b32 v11, v39 :: v_dual_add_nc_u32 v12, 0xfc, v38
	v_mov_b32_e32 v13, v39
	s_delay_alu instid0(VALU_DEP_3) | instskip(NEXT) | instid1(VALU_DEP_4)
	v_add_co_u32 v18, vcc_lo, v0, v2
	v_add_co_ci_u32_e32 v19, vcc_lo, v1, v3, vcc_lo
	ds_load_b128 v[2:5], v28 offset:2016
	ds_load_b128 v[6:9], v28 offset:3024
	v_lshlrev_b64 v[20:21], 4, v[10:11]
	v_lshlrev_b64 v[22:23], 4, v[12:13]
	ds_load_b128 v[10:13], v28 offset:4032
	ds_load_b128 v[14:17], v28 offset:5040
	v_add_co_u32 v20, vcc_lo, v0, v20
	v_add_co_ci_u32_e32 v21, vcc_lo, v1, v21, vcc_lo
	v_add_co_u32 v22, vcc_lo, v0, v22
	v_add_co_ci_u32_e32 v23, vcc_lo, v1, v23, vcc_lo
	v_add_co_u32 v24, vcc_lo, v0, v24
	v_add_co_ci_u32_e32 v25, vcc_lo, v1, v25, vcc_lo
	s_waitcnt lgkmcnt(3)
	global_store_b128 v[18:19], v[2:5], off
	s_waitcnt lgkmcnt(2)
	global_store_b128 v[20:21], v[6:9], off
	s_waitcnt lgkmcnt(1)
	global_store_b128 v[22:23], v[10:13], off
	s_waitcnt lgkmcnt(0)
	global_store_b128 v[24:25], v[14:17], off
	v_add_nc_u32_e32 v10, 0x1b9, v38
	v_lshlrev_b64 v[2:3], 4, v[26:27]
	v_dual_mov_b32 v11, v39 :: v_dual_add_nc_u32 v12, 0x1f8, v38
	v_dual_mov_b32 v13, v39 :: v_dual_add_nc_u32 v24, 0x237, v38
	;; [unrolled: 1-line block ×3, first 2 shown]
	s_delay_alu instid0(VALU_DEP_4)
	v_add_co_u32 v18, vcc_lo, v0, v2
	v_add_co_ci_u32_e32 v19, vcc_lo, v1, v3, vcc_lo
	ds_load_b128 v[2:5], v28 offset:6048
	ds_load_b128 v[6:9], v28 offset:7056
	v_lshlrev_b64 v[20:21], 4, v[10:11]
	v_lshlrev_b64 v[22:23], 4, v[12:13]
	ds_load_b128 v[10:13], v28 offset:8064
	ds_load_b128 v[14:17], v28 offset:9072
	v_lshlrev_b64 v[24:25], 4, v[24:25]
	v_add_co_u32 v20, vcc_lo, v0, v20
	v_add_co_ci_u32_e32 v21, vcc_lo, v1, v21, vcc_lo
	v_add_co_u32 v22, vcc_lo, v0, v22
	v_add_co_ci_u32_e32 v23, vcc_lo, v1, v23, vcc_lo
	;; [unrolled: 2-line block ×3, first 2 shown]
	s_waitcnt lgkmcnt(3)
	global_store_b128 v[18:19], v[2:5], off
	s_waitcnt lgkmcnt(2)
	global_store_b128 v[20:21], v[6:9], off
	s_waitcnt lgkmcnt(1)
	global_store_b128 v[22:23], v[10:13], off
	s_waitcnt lgkmcnt(0)
	global_store_b128 v[24:25], v[14:17], off
	v_lshlrev_b64 v[2:3], 4, v[26:27]
	v_dual_mov_b32 v11, v39 :: v_dual_add_nc_u32 v10, 0x2b5, v38
	v_dual_mov_b32 v13, v39 :: v_dual_add_nc_u32 v12, 0x2f4, v38
	;; [unrolled: 1-line block ×3, first 2 shown]
	s_delay_alu instid0(VALU_DEP_4)
	v_add_co_u32 v18, vcc_lo, v0, v2
	v_add_co_ci_u32_e32 v19, vcc_lo, v1, v3, vcc_lo
	ds_load_b128 v[2:5], v28 offset:10080
	ds_load_b128 v[6:9], v28 offset:11088
	v_lshlrev_b64 v[20:21], 4, v[10:11]
	v_lshlrev_b64 v[22:23], 4, v[12:13]
	ds_load_b128 v[10:13], v28 offset:12096
	ds_load_b128 v[14:17], v28 offset:13104
	v_lshlrev_b64 v[24:25], 4, v[24:25]
	v_add_co_u32 v20, vcc_lo, v0, v20
	v_add_co_ci_u32_e32 v21, vcc_lo, v1, v21, vcc_lo
	v_add_co_u32 v22, vcc_lo, v0, v22
	v_add_co_ci_u32_e32 v23, vcc_lo, v1, v23, vcc_lo
	;; [unrolled: 2-line block ×3, first 2 shown]
	v_cmp_eq_u32_e32 vcc_lo, 62, v38
	s_waitcnt lgkmcnt(3)
	global_store_b128 v[18:19], v[2:5], off
	s_waitcnt lgkmcnt(2)
	global_store_b128 v[20:21], v[6:9], off
	;; [unrolled: 2-line block ×4, first 2 shown]
	s_and_b32 exec_lo, exec_lo, vcc_lo
	s_cbranch_execz .LBB0_22
; %bb.21:
	ds_load_b128 v[2:5], v39 offset:14112
	v_add_co_u32 v0, vcc_lo, 0x3000, v0
	v_add_co_ci_u32_e32 v1, vcc_lo, 0, v1, vcc_lo
	s_waitcnt lgkmcnt(0)
	global_store_b128 v[0:1], v[2:5], off offset:1824
.LBB0_22:
	s_nop 0
	s_sendmsg sendmsg(MSG_DEALLOC_VGPRS)
	s_endpgm
	.section	.rodata,"a",@progbits
	.p2align	6, 0x0
	.amdhsa_kernel fft_rtc_fwd_len882_factors_9_7_7_2_wgs_63_tpt_63_dp_op_CI_CI_unitstride_sbrr_R2C_dirReg
		.amdhsa_group_segment_fixed_size 0
		.amdhsa_private_segment_fixed_size 0
		.amdhsa_kernarg_size 104
		.amdhsa_user_sgpr_count 15
		.amdhsa_user_sgpr_dispatch_ptr 0
		.amdhsa_user_sgpr_queue_ptr 0
		.amdhsa_user_sgpr_kernarg_segment_ptr 1
		.amdhsa_user_sgpr_dispatch_id 0
		.amdhsa_user_sgpr_private_segment_size 0
		.amdhsa_wavefront_size32 1
		.amdhsa_uses_dynamic_stack 0
		.amdhsa_enable_private_segment 0
		.amdhsa_system_sgpr_workgroup_id_x 1
		.amdhsa_system_sgpr_workgroup_id_y 0
		.amdhsa_system_sgpr_workgroup_id_z 0
		.amdhsa_system_sgpr_workgroup_info 0
		.amdhsa_system_vgpr_workitem_id 0
		.amdhsa_next_free_vgpr 133
		.amdhsa_next_free_sgpr 27
		.amdhsa_reserve_vcc 1
		.amdhsa_float_round_mode_32 0
		.amdhsa_float_round_mode_16_64 0
		.amdhsa_float_denorm_mode_32 3
		.amdhsa_float_denorm_mode_16_64 3
		.amdhsa_dx10_clamp 1
		.amdhsa_ieee_mode 1
		.amdhsa_fp16_overflow 0
		.amdhsa_workgroup_processor_mode 1
		.amdhsa_memory_ordered 1
		.amdhsa_forward_progress 0
		.amdhsa_shared_vgpr_count 0
		.amdhsa_exception_fp_ieee_invalid_op 0
		.amdhsa_exception_fp_denorm_src 0
		.amdhsa_exception_fp_ieee_div_zero 0
		.amdhsa_exception_fp_ieee_overflow 0
		.amdhsa_exception_fp_ieee_underflow 0
		.amdhsa_exception_fp_ieee_inexact 0
		.amdhsa_exception_int_div_zero 0
	.end_amdhsa_kernel
	.text
.Lfunc_end0:
	.size	fft_rtc_fwd_len882_factors_9_7_7_2_wgs_63_tpt_63_dp_op_CI_CI_unitstride_sbrr_R2C_dirReg, .Lfunc_end0-fft_rtc_fwd_len882_factors_9_7_7_2_wgs_63_tpt_63_dp_op_CI_CI_unitstride_sbrr_R2C_dirReg
                                        ; -- End function
	.section	.AMDGPU.csdata,"",@progbits
; Kernel info:
; codeLenInByte = 11964
; NumSgprs: 29
; NumVgprs: 133
; ScratchSize: 0
; MemoryBound: 0
; FloatMode: 240
; IeeeMode: 1
; LDSByteSize: 0 bytes/workgroup (compile time only)
; SGPRBlocks: 3
; VGPRBlocks: 16
; NumSGPRsForWavesPerEU: 29
; NumVGPRsForWavesPerEU: 133
; Occupancy: 10
; WaveLimiterHint : 1
; COMPUTE_PGM_RSRC2:SCRATCH_EN: 0
; COMPUTE_PGM_RSRC2:USER_SGPR: 15
; COMPUTE_PGM_RSRC2:TRAP_HANDLER: 0
; COMPUTE_PGM_RSRC2:TGID_X_EN: 1
; COMPUTE_PGM_RSRC2:TGID_Y_EN: 0
; COMPUTE_PGM_RSRC2:TGID_Z_EN: 0
; COMPUTE_PGM_RSRC2:TIDIG_COMP_CNT: 0
	.text
	.p2alignl 7, 3214868480
	.fill 96, 4, 3214868480
	.type	__hip_cuid_154c82492c45fe19,@object ; @__hip_cuid_154c82492c45fe19
	.section	.bss,"aw",@nobits
	.globl	__hip_cuid_154c82492c45fe19
__hip_cuid_154c82492c45fe19:
	.byte	0                               ; 0x0
	.size	__hip_cuid_154c82492c45fe19, 1

	.ident	"AMD clang version 19.0.0git (https://github.com/RadeonOpenCompute/llvm-project roc-6.4.0 25133 c7fe45cf4b819c5991fe208aaa96edf142730f1d)"
	.section	".note.GNU-stack","",@progbits
	.addrsig
	.addrsig_sym __hip_cuid_154c82492c45fe19
	.amdgpu_metadata
---
amdhsa.kernels:
  - .args:
      - .actual_access:  read_only
        .address_space:  global
        .offset:         0
        .size:           8
        .value_kind:     global_buffer
      - .offset:         8
        .size:           8
        .value_kind:     by_value
      - .actual_access:  read_only
        .address_space:  global
        .offset:         16
        .size:           8
        .value_kind:     global_buffer
      - .actual_access:  read_only
        .address_space:  global
        .offset:         24
        .size:           8
        .value_kind:     global_buffer
      - .actual_access:  read_only
        .address_space:  global
        .offset:         32
        .size:           8
        .value_kind:     global_buffer
      - .offset:         40
        .size:           8
        .value_kind:     by_value
      - .actual_access:  read_only
        .address_space:  global
        .offset:         48
        .size:           8
        .value_kind:     global_buffer
      - .actual_access:  read_only
        .address_space:  global
        .offset:         56
        .size:           8
        .value_kind:     global_buffer
      - .offset:         64
        .size:           4
        .value_kind:     by_value
      - .actual_access:  read_only
        .address_space:  global
        .offset:         72
        .size:           8
        .value_kind:     global_buffer
      - .actual_access:  read_only
        .address_space:  global
        .offset:         80
        .size:           8
        .value_kind:     global_buffer
      - .actual_access:  read_only
        .address_space:  global
        .offset:         88
        .size:           8
        .value_kind:     global_buffer
      - .actual_access:  write_only
        .address_space:  global
        .offset:         96
        .size:           8
        .value_kind:     global_buffer
    .group_segment_fixed_size: 0
    .kernarg_segment_align: 8
    .kernarg_segment_size: 104
    .language:       OpenCL C
    .language_version:
      - 2
      - 0
    .max_flat_workgroup_size: 63
    .name:           fft_rtc_fwd_len882_factors_9_7_7_2_wgs_63_tpt_63_dp_op_CI_CI_unitstride_sbrr_R2C_dirReg
    .private_segment_fixed_size: 0
    .sgpr_count:     29
    .sgpr_spill_count: 0
    .symbol:         fft_rtc_fwd_len882_factors_9_7_7_2_wgs_63_tpt_63_dp_op_CI_CI_unitstride_sbrr_R2C_dirReg.kd
    .uniform_work_group_size: 1
    .uses_dynamic_stack: false
    .vgpr_count:     133
    .vgpr_spill_count: 0
    .wavefront_size: 32
    .workgroup_processor_mode: 1
amdhsa.target:   amdgcn-amd-amdhsa--gfx1100
amdhsa.version:
  - 1
  - 2
...

	.end_amdgpu_metadata
